;; amdgpu-corpus repo=ROCm/rocFFT kind=compiled arch=gfx1201 opt=O3
	.text
	.amdgcn_target "amdgcn-amd-amdhsa--gfx1201"
	.amdhsa_code_object_version 6
	.protected	bluestein_single_fwd_len867_dim1_sp_op_CI_CI ; -- Begin function bluestein_single_fwd_len867_dim1_sp_op_CI_CI
	.globl	bluestein_single_fwd_len867_dim1_sp_op_CI_CI
	.p2align	8
	.type	bluestein_single_fwd_len867_dim1_sp_op_CI_CI,@function
bluestein_single_fwd_len867_dim1_sp_op_CI_CI: ; @bluestein_single_fwd_len867_dim1_sp_op_CI_CI
; %bb.0:
	s_load_b128 s[16:19], s[0:1], 0x28
	v_mul_u32_u24_e32 v1, 0x506, v0
	s_mov_b32 s2, exec_lo
	v_mov_b32_e32 v85, 0
	s_delay_alu instid0(VALU_DEP_2) | instskip(NEXT) | instid1(VALU_DEP_1)
	v_lshrrev_b32_e32 v1, 16, v1
	v_add_nc_u32_e32 v84, ttmp9, v1
	s_wait_kmcnt 0x0
	s_delay_alu instid0(VALU_DEP_1)
	v_cmpx_gt_u64_e64 s[16:17], v[84:85]
	s_cbranch_execz .LBB0_10
; %bb.1:
	s_clause 0x1
	s_load_b128 s[4:7], s[0:1], 0x18
	s_load_b128 s[8:11], s[0:1], 0x0
	v_mul_lo_u16 v1, v1, 51
	s_delay_alu instid0(VALU_DEP_1) | instskip(NEXT) | instid1(VALU_DEP_1)
	v_sub_nc_u16 v36, v0, v1
	v_and_b32_e32 v130, 0xffff, v36
	s_wait_kmcnt 0x0
	s_load_b128 s[12:15], s[4:5], 0x0
	s_wait_kmcnt 0x0
	v_mad_co_u64_u32 v[0:1], null, s14, v84, 0
	v_mad_co_u64_u32 v[2:3], null, s12, v130, 0
	s_mul_u64 s[2:3], s[12:13], 0x198
	s_delay_alu instid0(VALU_DEP_1) | instskip(NEXT) | instid1(VALU_DEP_1)
	v_mad_co_u64_u32 v[4:5], null, s15, v84, v[1:2]
	v_mov_b32_e32 v1, v4
	s_delay_alu instid0(VALU_DEP_3)
	v_mad_co_u64_u32 v[5:6], null, s13, v130, v[3:4]
	v_lshlrev_b32_e32 v129, 3, v130
	s_clause 0x3
	global_load_b64 v[99:100], v129, s[8:9]
	global_load_b64 v[105:106], v129, s[8:9] offset:408
	global_load_b64 v[85:86], v129, s[8:9] offset:816
	;; [unrolled: 1-line block ×3, first 2 shown]
	v_dual_mov_b32 v3, v5 :: v_dual_add_nc_u32 v132, 0x1000, v129
	v_lshlrev_b64_e32 v[0:1], 3, v[0:1]
	s_clause 0x7
	global_load_b64 v[97:98], v129, s[8:9] offset:1632
	global_load_b64 v[103:104], v129, s[8:9] offset:2040
	;; [unrolled: 1-line block ×8, first 2 shown]
	v_lshlrev_b64_e32 v[2:3], 3, v[2:3]
	s_clause 0x2
	global_load_b64 v[89:90], v129, s[8:9] offset:4896
	global_load_b64 v[95:96], v129, s[8:9] offset:5304
	;; [unrolled: 1-line block ×3, first 2 shown]
	v_add_co_u32 v0, vcc_lo, s18, v0
	v_add_co_ci_u32_e32 v1, vcc_lo, s19, v1, vcc_lo
	s_delay_alu instid0(VALU_DEP_2) | instskip(SKIP_1) | instid1(VALU_DEP_2)
	v_add_co_u32 v0, vcc_lo, v0, v2
	s_wait_alu 0xfffd
	v_add_co_ci_u32_e32 v1, vcc_lo, v1, v3, vcc_lo
	s_delay_alu instid0(VALU_DEP_2) | instskip(SKIP_1) | instid1(VALU_DEP_2)
	v_add_co_u32 v2, vcc_lo, v0, s2
	s_wait_alu 0xfffd
	;; [unrolled: 4-line block ×5, first 2 shown]
	v_add_co_ci_u32_e32 v9, vcc_lo, s3, v7, vcc_lo
	s_clause 0x3
	global_load_b64 v[0:1], v[0:1], off
	global_load_b64 v[2:3], v[2:3], off
	;; [unrolled: 1-line block ×4, first 2 shown]
	v_add_co_u32 v10, vcc_lo, v8, s2
	s_wait_alu 0xfffd
	v_add_co_ci_u32_e32 v11, vcc_lo, s3, v9, vcc_lo
	global_load_b64 v[8:9], v[8:9], off
	v_add_co_u32 v12, vcc_lo, v10, s2
	s_wait_alu 0xfffd
	v_add_co_ci_u32_e32 v13, vcc_lo, s3, v11, vcc_lo
	global_load_b64 v[10:11], v[10:11], off
	;; [unrolled: 4-line block ×11, first 2 shown]
	v_add_co_u32 v32, vcc_lo, v30, s2
	s_wait_alu 0xfffd
	v_add_co_ci_u32_e32 v33, vcc_lo, s3, v31, vcc_lo
	s_load_b64 s[2:3], s[0:1], 0x38
	v_cmp_gt_u16_e32 vcc_lo, 34, v36
	s_wait_loadcnt 0xe
	v_mul_f32_e32 v34, v1, v100
	global_load_b64 v[115:116], v129, s[8:9] offset:6120
	global_load_b64 v[30:31], v[30:31], off
	global_load_b64 v[117:118], v129, s[8:9] offset:6528
	global_load_b64 v[32:33], v[32:33], off
	s_wait_loadcnt 0x11
	v_dual_mul_f32 v38, v3, v106 :: v_dual_add_nc_u32 v131, 0x800, v129
	v_mul_f32_e32 v35, v0, v100
	v_dual_fmac_f32 v34, v0, v99 :: v_dual_add_nc_u32 v37, 0xc00, v129
	s_wait_loadcnt 0xf
	v_dual_mul_f32 v0, v5, v86 :: v_dual_mul_f32 v41, v6, v88
	v_fmac_f32_e32 v38, v2, v105
	v_fma_f32 v35, v1, v99, -v35
	v_dual_mul_f32 v1, v2, v106 :: v_dual_mul_f32 v2, v7, v88
	v_mul_f32_e32 v40, v4, v86
	v_fmac_f32_e32 v0, v4, v85
	s_wait_loadcnt 0xe
	v_mul_f32_e32 v4, v9, v98
	v_fma_f32 v39, v3, v105, -v1
	v_fmac_f32_e32 v2, v6, v87
	v_fma_f32 v1, v5, v85, -v40
	v_mul_f32_e32 v5, v8, v98
	v_fma_f32 v3, v7, v87, -v41
	ds_store_2addr_b64 v129, v[34:35], v[38:39] offset1:51
	s_wait_loadcnt 0xd
	v_mul_f32_e32 v6, v11, v104
	s_load_b128 s[4:7], s[6:7], 0x0
	v_fma_f32 v5, v9, v97, -v5
	ds_store_2addr_b64 v129, v[0:1], v[2:3] offset0:102 offset1:153
	s_wait_loadcnt 0xc
	v_mul_f32_e32 v3, v12, v94
	v_dual_mul_f32 v1, v10, v104 :: v_dual_mul_f32 v0, v13, v94
	s_wait_loadcnt 0xa
	v_dual_mul_f32 v2, v15, v102 :: v_dual_mul_f32 v9, v16, v108
	v_fmac_f32_e32 v4, v8, v97
	v_mul_f32_e32 v8, v14, v102
	v_fmac_f32_e32 v6, v10, v103
	v_fma_f32 v7, v11, v103, -v1
	v_fma_f32 v1, v13, v93, -v3
	;; [unrolled: 1-line block ×4, first 2 shown]
	v_mul_f32_e32 v8, v17, v108
	s_wait_loadcnt 0x5
	v_dual_mul_f32 v11, v26, v96 :: v_dual_fmac_f32 v0, v12, v93
	v_mul_f32_e32 v10, v27, v96
	s_wait_loadcnt 0x4
	v_dual_mul_f32 v13, v28, v92 :: v_dual_fmac_f32 v2, v14, v101
	v_mul_f32_e32 v12, v29, v92
	s_delay_alu instid0(VALU_DEP_3) | instskip(SKIP_1) | instid1(VALU_DEP_4)
	v_fmac_f32_e32 v10, v26, v95
	v_fma_f32 v11, v27, v95, -v11
	v_fma_f32 v13, v29, v91, -v13
	s_wait_loadcnt 0x2
	v_dual_fmac_f32 v12, v28, v91 :: v_dual_mul_f32 v15, v30, v116
	ds_store_2addr_b64 v131, v[0:1], v[2:3] offset0:50 offset1:101
	v_mul_f32_e32 v1, v18, v110
	v_mul_f32_e32 v3, v20, v114
	ds_store_2addr_b64 v129, v[4:5], v[6:7] offset0:204 offset1:255
	v_dual_mul_f32 v7, v22, v112 :: v_dual_mul_f32 v4, v19, v110
	v_mul_f32_e32 v0, v21, v114
	v_mul_f32_e32 v2, v23, v112
	v_fma_f32 v5, v19, v109, -v1
	v_fma_f32 v1, v21, v113, -v3
	v_mul_f32_e32 v6, v25, v90
	v_fma_f32 v3, v23, v111, -v7
	v_dual_mul_f32 v7, v24, v90 :: v_dual_mul_f32 v14, v31, v116
	s_wait_loadcnt 0x0
	v_mul_f32_e32 v17, v32, v118
	v_fmac_f32_e32 v8, v16, v107
	v_mul_f32_e32 v16, v33, v118
	v_fmac_f32_e32 v4, v18, v109
	v_fmac_f32_e32 v0, v20, v113
	;; [unrolled: 1-line block ×4, first 2 shown]
	v_fma_f32 v7, v25, v89, -v7
	v_fmac_f32_e32 v14, v30, v115
	v_fma_f32 v15, v31, v115, -v15
	v_fmac_f32_e32 v16, v32, v117
	v_fma_f32 v17, v33, v117, -v17
	ds_store_2addr_b64 v131, v[8:9], v[4:5] offset0:152 offset1:203
	ds_store_2addr_b64 v37, v[0:1], v[2:3] offset0:126 offset1:177
	ds_store_2addr_b64 v132, v[6:7], v[10:11] offset0:100 offset1:151
	ds_store_2addr_b64 v132, v[12:13], v[14:15] offset0:202 offset1:253
	ds_store_b64 v129, v[16:17] offset:6528
	global_wb scope:SCOPE_SE
	s_wait_dscnt 0x0
	s_wait_kmcnt 0x0
	s_barrier_signal -1
	s_barrier_wait -1
	global_inv scope:SCOPE_SE
	ds_load_2addr_b64 v[12:15], v129 offset1:51
	ds_load_b64 v[32:33], v129 offset:6528
	ds_load_2addr_b64 v[20:23], v129 offset0:102 offset1:153
	ds_load_2addr_b64 v[8:11], v132 offset0:202 offset1:253
	;; [unrolled: 1-line block ×7, first 2 shown]
	global_wb scope:SCOPE_SE
	s_wait_dscnt 0x0
	s_barrier_signal -1
	s_barrier_wait -1
	global_inv scope:SCOPE_SE
	v_add_f32_e32 v35, v13, v15
	v_add_f32_e32 v39, v33, v15
	v_sub_f32_e32 v15, v15, v33
	v_dual_sub_f32 v47, v23, v9 :: v_dual_add_f32 v34, v12, v14
	v_add_f32_e32 v38, v32, v14
	v_dual_sub_f32 v42, v20, v10 :: v_dual_sub_f32 v49, v1, v7
	s_delay_alu instid0(VALU_DEP_3) | instskip(NEXT) | instid1(VALU_DEP_2)
	v_dual_mul_f32 v123, 0x3f2c7751, v47 :: v_dual_sub_f32 v14, v14, v32
	v_dual_mul_f32 v58, 0xbf7ee86f, v15 :: v_dual_mul_f32 v69, 0xbf7ee86f, v42
	s_delay_alu instid0(VALU_DEP_3) | instskip(NEXT) | instid1(VALU_DEP_3)
	v_dual_mul_f32 v133, 0xbf7ee86f, v49 :: v_dual_add_f32 v40, v10, v20
	v_dual_mul_f32 v61, 0xbf763a35, v14 :: v_dual_sub_f32 v46, v22, v8
	v_mul_f32_e32 v63, 0xbf4c4adb, v14
	v_dual_mul_f32 v56, 0xbf65296c, v15 :: v_dual_mul_f32 v57, 0xbf65296c, v14
	s_delay_alu instid0(VALU_DEP_3)
	v_dual_mul_f32 v62, 0xbf4c4adb, v15 :: v_dual_mul_f32 v83, 0xbf4c4adb, v46
	v_add_f32_e32 v41, v11, v21
	v_dual_sub_f32 v43, v21, v11 :: v_dual_add_f32 v48, v6, v0
	v_mul_f32_e32 v65, 0xbf06c442, v14
	v_sub_f32_e32 v51, v0, v6
	v_add_f32_e32 v21, v35, v21
	v_mul_f32_e32 v35, 0xbeb8f4ab, v14
	v_mul_f32_e32 v55, 0xbf2c7751, v14
	;; [unrolled: 1-line block ×4, first 2 shown]
	v_dual_mul_f32 v14, 0xbe3c28d5, v14 :: v_dual_mul_f32 v141, 0xbe3c28d5, v51
	v_mul_f32_e32 v81, 0xbf65296c, v46
	v_dual_mul_f32 v119, 0x3e3c28d5, v47 :: v_dual_add_f32 v20, v34, v20
	v_mul_f32_e32 v75, 0x3f06c442, v42
	v_mul_f32_e32 v121, 0x3f763a35, v47
	v_fma_f32 v149, 0x3ee437d1, v38, -v56
	v_mul_f32_e32 v34, 0xbeb8f4ab, v15
	v_fma_f32 v151, 0x3dbcf732, v38, -v58
	v_fmamk_f32 v150, v39, 0x3ee437d1, v57
	v_fma_f32 v57, 0x3ee437d1, v39, -v57
	v_mul_f32_e32 v54, 0xbf2c7751, v15
	v_fma_f32 v155, 0xbf1a4643, v38, -v62
	v_fmamk_f32 v154, v39, 0xbe8c1d8e, v61
	v_fma_f32 v61, 0xbe8c1d8e, v39, -v61
	v_mul_f32_e32 v64, 0xbf06c442, v15
	v_dual_mul_f32 v15, 0xbe3c28d5, v15 :: v_dual_add_f32 v50, v7, v1
	v_dual_mul_f32 v71, 0xbf4c4adb, v42 :: v_dual_sub_f32 v52, v2, v4
	v_mul_f32_e32 v73, 0xbe3c28d5, v42
	v_mul_f32_e32 v67, 0xbf2c7751, v42
	v_dual_mul_f32 v76, 0x3f763a35, v43 :: v_dual_mul_f32 v77, 0x3f763a35, v42
	v_dual_mul_f32 v78, 0x3f65296c, v43 :: v_dual_mul_f32 v79, 0x3f65296c, v42
	;; [unrolled: 1-line block ×3, first 2 shown]
	v_fma_f32 v159, 0xbf7ba420, v38, -v15
	v_fmamk_f32 v158, v39, 0xbf59a7d5, v65
	v_fma_f32 v65, 0xbf59a7d5, v39, -v65
	v_dual_fmamk_f32 v160, v39, 0xbf7ba420, v14 :: v_dual_fmac_f32 v15, 0xbf7ba420, v38
	v_add_f32_e32 v45, v9, v23
	s_delay_alu instid0(VALU_DEP_3)
	v_dual_mul_f32 v68, 0xbf7ee86f, v43 :: v_dual_add_f32 v65, v13, v65
	v_dual_mul_f32 v127, 0xbf7ee86f, v47 :: v_dual_mul_f32 v128, 0xbf7ee86f, v46
	v_fmamk_f32 v152, v39, 0x3dbcf732, v59
	v_fma_f32 v59, 0x3dbcf732, v39, -v59
	v_fmamk_f32 v156, v39, 0xbf1a4643, v63
	v_fma_f32 v63, 0xbf1a4643, v39, -v63
	v_fmamk_f32 v174, v41, 0x3f6eb680, v42
	v_add_f32_e32 v160, v13, v160
	v_fmamk_f32 v172, v41, 0x3ee437d1, v79
	v_fma_f32 v79, 0x3ee437d1, v41, -v79
	v_dual_mul_f32 v120, 0x3e3c28d5, v46 :: v_dual_add_f32 v21, v21, v23
	v_mul_f32_e32 v72, 0xbe3c28d5, v43
	s_delay_alu instid0(VALU_DEP_3)
	v_dual_fmamk_f32 v170, v41, 0xbe8c1d8e, v77 :: v_dual_add_f32 v65, v79, v65
	v_fmamk_f32 v186, v45, 0x3dbcf732, v128
	v_fma_f32 v128, 0x3dbcf732, v45, -v128
	v_add_f32_e32 v59, v13, v59
	v_add_f32_e32 v63, v13, v63
	;; [unrolled: 1-line block ×3, first 2 shown]
	v_fmamk_f32 v166, v41, 0xbf7ba420, v73
	v_fma_f32 v73, 0xbf7ba420, v41, -v73
	v_dual_add_f32 v44, v8, v22 :: v_dual_mul_f32 v125, 0xbeb8f4ab, v47
	v_dual_mul_f32 v138, 0xbf06c442, v49 :: v_dual_mul_f32 v145, 0xbf06c442, v51
	v_dual_mul_f32 v139, 0x3f4c4adb, v49 :: v_dual_mul_f32 v146, 0x3f4c4adb, v51
	v_add_f32_e32 v20, v20, v22
	v_fma_f32 v169, 0xbe8c1d8e, v40, -v76
	v_dual_fmac_f32 v76, 0xbe8c1d8e, v40 :: v_dual_add_f32 v59, v73, v59
	v_fma_f32 v77, 0xbe8c1d8e, v41, -v77
	v_fmamk_f32 v195, v50, 0xbf7ba420, v141
	v_add_f32_e32 v149, v12, v149
	v_fma_f32 v22, 0x3f6eb680, v38, -v34
	v_dual_fmamk_f32 v23, v39, 0x3f6eb680, v35 :: v_dual_fmac_f32 v34, 0x3f6eb680, v38
	v_dual_mul_f32 v126, 0xbeb8f4ab, v46 :: v_dual_add_f32 v57, v13, v57
	v_dual_add_f32 v152, v13, v152 :: v_dual_add_f32 v65, v128, v65
	v_dual_mul_f32 v142, 0x3f763a35, v51 :: v_dual_add_f32 v61, v13, v61
	v_dual_add_f32 v155, v12, v155 :: v_dual_add_f32 v154, v13, v154
	v_dual_add_f32 v159, v12, v159 :: v_dual_add_f32 v158, v13, v158
	v_add_f32_e32 v1, v21, v1
	v_fma_f32 v165, 0xbf7ba420, v40, -v72
	v_fmac_f32_e32 v72, 0xbf7ba420, v40
	v_dual_add_f32 v73, v174, v160 :: v_dual_fmamk_f32 v168, v41, 0xbf59a7d5, v75
	v_mul_f32_e32 v144, 0xbf65296c, v51
	v_fma_f32 v75, 0xbf59a7d5, v41, -v75
	v_fmamk_f32 v164, v41, 0xbf1a4643, v71
	v_fma_f32 v71, 0xbf1a4643, v41, -v71
	v_mul_f32_e32 v140, 0xbf7ee86f, v51
	v_mul_f32_e32 v51, 0x3f2c7751, v51
	v_fma_f32 v35, 0x3f6eb680, v39, -v35
	v_fmamk_f32 v148, v39, 0x3f3d2fb0, v55
	v_fma_f32 v55, 0x3f3d2fb0, v39, -v55
	v_fma_f32 v153, 0xbe8c1d8e, v38, -v60
	;; [unrolled: 1-line block ×3, first 2 shown]
	v_dual_fmac_f32 v78, 0x3ee437d1, v40 :: v_dual_add_f32 v63, v77, v63
	v_add_f32_e32 v23, v13, v23
	v_fmamk_f32 v184, v45, 0x3f6eb680, v126
	v_fma_f32 v126, 0x3f6eb680, v45, -v126
	v_dual_mul_f32 v80, 0xbf65296c, v47 :: v_dual_mul_f32 v137, 0xbf65296c, v49
	v_dual_mul_f32 v122, 0x3f763a35, v46 :: v_dual_mul_f32 v135, 0x3f763a35, v49
	v_mul_f32_e32 v124, 0x3f2c7751, v46
	v_mul_f32_e32 v46, 0xbf06c442, v46
	v_dual_mul_f32 v134, 0xbe3c28d5, v49 :: v_dual_add_f32 v35, v13, v35
	v_fma_f32 v147, 0x3f3d2fb0, v38, -v54
	v_mul_f32_e32 v136, 0x3eb8f4ab, v49
	v_mul_f32_e32 v49, 0x3f2c7751, v49
	v_fmac_f32_e32 v54, 0x3f3d2fb0, v38
	v_fmac_f32_e32 v56, 0x3ee437d1, v38
	;; [unrolled: 1-line block ×4, first 2 shown]
	v_fma_f32 v157, 0xbf59a7d5, v38, -v64
	v_fma_f32 v14, 0xbf7ba420, v39, -v14
	v_mul_f32_e32 v70, 0xbf4c4adb, v43
	v_fmamk_f32 v39, v41, 0x3f3d2fb0, v67
	v_fma_f32 v67, 0x3f3d2fb0, v41, -v67
	v_fmamk_f32 v162, v41, 0x3dbcf732, v69
	v_fma_f32 v69, 0x3dbcf732, v41, -v69
	v_add_f32_e32 v55, v13, v55
	v_dual_add_f32 v151, v12, v151 :: v_dual_add_f32 v150, v13, v150
	v_add_f32_e32 v63, v126, v63
	v_dual_add_f32 v153, v12, v153 :: v_dual_fmac_f32 v60, 0xbe8c1d8e, v38
	v_dual_add_f32 v61, v75, v61 :: v_dual_mul_f32 v82, 0xbf4c4adb, v47
	v_mul_f32_e32 v47, 0xbf06c442, v47
	v_fmac_f32_e32 v64, 0xbf59a7d5, v38
	v_dual_mul_f32 v66, 0xbf2c7751, v43 :: v_dual_add_f32 v157, v12, v157
	v_fma_f32 v161, 0x3dbcf732, v40, -v68
	v_dual_fmac_f32 v68, 0x3dbcf732, v40 :: v_dual_add_f32 v21, v67, v35
	v_fma_f32 v177, 0xbf7ba420, v44, -v119
	v_dual_fmamk_f32 v178, v45, 0xbf7ba420, v120 :: v_dual_fmac_f32 v119, 0xbf7ba420, v44
	v_fma_f32 v179, 0xbe8c1d8e, v44, -v121
	v_dual_fmamk_f32 v180, v45, 0xbe8c1d8e, v122 :: v_dual_fmac_f32 v121, 0xbe8c1d8e, v44
	v_fma_f32 v122, 0xbe8c1d8e, v45, -v122
	v_fma_f32 v181, 0x3f3d2fb0, v44, -v123
	v_dual_fmamk_f32 v182, v45, 0x3f3d2fb0, v124 :: v_dual_fmac_f32 v123, 0x3f3d2fb0, v44
	v_fma_f32 v185, 0x3dbcf732, v44, -v127
	v_fmac_f32_e32 v127, 0x3dbcf732, v44
	v_fma_f32 v187, 0xbf59a7d5, v44, -v47
	v_fmac_f32_e32 v47, 0xbf59a7d5, v44
	;; [unrolled: 2-line block ×4, first 2 shown]
	v_fma_f32 v194, 0x3f3d2fb0, v48, -v49
	v_dual_fmac_f32 v49, 0x3f3d2fb0, v48 :: v_dual_add_f32 v22, v12, v22
	v_fma_f32 v141, 0xbf7ba420, v50, -v141
	v_add_f32_e32 v34, v12, v34
	v_dual_add_f32 v147, v12, v147 :: v_dual_add_f32 v148, v13, v148
	v_add_f32_e32 v58, v12, v58
	v_add_f32_e32 v60, v12, v60
	;; [unrolled: 1-line block ×3, first 2 shown]
	v_dual_add_f32 v64, v12, v64 :: v_dual_add_f32 v13, v13, v14
	v_fma_f32 v163, 0xbf1a4643, v40, -v70
	v_dual_fmac_f32 v70, 0xbf1a4643, v40 :: v_dual_add_f32 v35, v69, v55
	v_add_f32_e32 v55, v71, v57
	v_add_f32_e32 v71, v172, v158
	;; [unrolled: 1-line block ×7, first 2 shown]
	v_dual_mul_f32 v74, 0x3f06c442, v43 :: v_dual_add_f32 v23, v162, v148
	v_mul_f32_e32 v43, 0x3eb8f4ab, v43
	v_fma_f32 v38, 0x3f3d2fb0, v40, -v66
	v_dual_fmac_f32 v66, 0x3f3d2fb0, v40 :: v_dual_fmamk_f32 v201, v50, 0x3f3d2fb0, v51
	s_delay_alu instid0(VALU_DEP_4)
	v_fma_f32 v167, 0xbf59a7d5, v40, -v74
	v_dual_fmac_f32 v74, 0xbf59a7d5, v40 :: v_dual_fmamk_f32 v199, v50, 0xbf59a7d5, v145
	v_fma_f32 v173, 0x3f6eb680, v40, -v43
	v_fmac_f32_e32 v43, 0x3f6eb680, v40
	v_fma_f32 v40, 0x3f6eb680, v41, -v42
	v_fma_f32 v41, 0x3ee437d1, v44, -v80
	v_dual_fmac_f32 v80, 0x3ee437d1, v44 :: v_dual_add_f32 v1, v1, v3
	v_fma_f32 v188, 0xbf7ba420, v48, -v134
	v_fmac_f32_e32 v134, 0xbf7ba420, v48
	v_dual_fmamk_f32 v42, v45, 0x3ee437d1, v81 :: v_dual_add_f32 v13, v40, v13
	s_delay_alu instid0(VALU_DEP_4) | instskip(SKIP_1) | instid1(VALU_DEP_3)
	v_add_f32_e32 v1, v1, v25
	v_fma_f32 v81, 0x3ee437d1, v45, -v81
	v_dual_fmamk_f32 v176, v45, 0xbf1a4643, v83 :: v_dual_add_f32 v15, v42, v15
	v_fma_f32 v83, 0xbf1a4643, v45, -v83
	s_delay_alu instid0(VALU_DEP_4)
	v_add_f32_e32 v1, v1, v27
	v_fma_f32 v120, 0xbf7ba420, v45, -v120
	v_fma_f32 v124, 0x3f3d2fb0, v45, -v124
	;; [unrolled: 1-line block ×3, first 2 shown]
	v_fmac_f32_e32 v125, 0x3f6eb680, v44
	v_dual_add_f32 v1, v1, v17 :: v_dual_add_f32 v0, v20, v0
	v_fma_f32 v189, 0xbe8c1d8e, v48, -v135
	v_fmac_f32_e32 v135, 0xbe8c1d8e, v48
	v_fma_f32 v190, 0x3f6eb680, v48, -v136
	s_delay_alu instid0(VALU_DEP_4)
	v_dual_add_f32 v1, v1, v19 :: v_dual_fmac_f32 v136, 0x3f6eb680, v48
	v_fmamk_f32 v197, v50, 0x3f6eb680, v143
	v_fma_f32 v192, 0xbf59a7d5, v48, -v138
	v_dual_fmac_f32 v138, 0xbf59a7d5, v48 :: v_dual_add_f32 v35, v83, v35
	v_add_f32_e32 v39, v164, v150
	v_fma_f32 v175, 0xbf1a4643, v44, -v82
	v_dual_fmac_f32 v82, 0xbf1a4643, v44 :: v_dual_add_f32 v21, v81, v21
	v_dual_fmamk_f32 v44, v45, 0xbf59a7d5, v46 :: v_dual_add_f32 v23, v176, v23
	v_fma_f32 v45, 0xbf59a7d5, v45, -v46
	v_fma_f32 v46, 0x3dbcf732, v48, -v133
	v_dual_fmac_f32 v133, 0x3dbcf732, v48 :: v_dual_fmamk_f32 v48, v50, 0x3dbcf732, v140
	v_fma_f32 v140, 0x3dbcf732, v50, -v140
	v_dual_add_f32 v0, v0, v2 :: v_dual_add_f32 v1, v1, v29
	v_sub_f32_e32 v53, v3, v5
	v_add_f32_e32 v3, v5, v3
	v_add_f32_e32 v39, v178, v39
	s_delay_alu instid0(VALU_DEP_4)
	v_dual_add_f32 v20, v66, v34 :: v_dual_add_f32 v1, v1, v31
	v_add_f32_e32 v21, v140, v21
	v_add_f32_e32 v69, v170, v156
	;; [unrolled: 1-line block ×4, first 2 shown]
	v_fmamk_f32 v196, v50, 0xbe8c1d8e, v142
	v_dual_add_f32 v12, v43, v12 :: v_dual_add_f32 v1, v1, v5
	s_delay_alu instid0(VALU_DEP_4)
	v_add_f32_e32 v43, v180, v57
	v_dual_add_f32 v57, v182, v67 :: v_dual_add_f32 v34, v68, v54
	v_add_f32_e32 v67, v186, v71
	v_add_f32_e32 v54, v70, v56
	v_dual_add_f32 v0, v0, v26 :: v_dual_add_f32 v13, v45, v13
	v_dual_add_f32 v58, v72, v58 :: v_dual_add_f32 v1, v1, v7
	v_add_f32_e32 v2, v4, v2
	s_delay_alu instid0(VALU_DEP_3) | instskip(SKIP_3) | instid1(VALU_DEP_4)
	v_add_f32_e32 v0, v0, v16
	v_fmamk_f32 v200, v50, 0xbf1a4643, v146
	v_fma_f32 v146, 0xbf1a4643, v50, -v146
	v_dual_add_f32 v60, v74, v60 :: v_dual_add_f32 v1, v1, v9
	v_add_f32_e32 v0, v0, v18
	v_add_f32_e32 v68, v169, v155
	;; [unrolled: 1-line block ×3, first 2 shown]
	v_dual_add_f32 v14, v38, v22 :: v_dual_add_f32 v43, v197, v43
	v_add_f32_e32 v1, v1, v11
	v_dual_add_f32 v11, v146, v65 :: v_dual_add_f32 v0, v0, v28
	v_fma_f32 v142, 0xbe8c1d8e, v50, -v142
	v_fma_f32 v143, 0x3f6eb680, v50, -v143
	v_fmamk_f32 v198, v50, 0x3ee437d1, v144
	v_fma_f32 v144, 0x3ee437d1, v50, -v144
	v_add_f32_e32 v0, v0, v30
	v_dual_add_f32 v72, v173, v159 :: v_dual_mul_f32 v5, 0xbf763a35, v52
	v_add_f32_e32 v44, v44, v73
	s_delay_alu instid0(VALU_DEP_3) | instskip(SKIP_3) | instid1(VALU_DEP_4)
	v_dual_add_f32 v1, v1, v33 :: v_dual_add_f32 v0, v0, v4
	v_add_f32_e32 v12, v47, v12
	v_mul_f32_e32 v4, 0xbf763a35, v53
	v_add_f32_e32 v20, v80, v20
	v_dual_add_f32 v33, v201, v44 :: v_dual_add_f32 v0, v0, v6
	s_delay_alu instid0(VALU_DEP_4) | instskip(NEXT) | instid1(VALU_DEP_4)
	v_add_f32_e32 v12, v49, v12
	v_fma_f32 v44, 0xbe8c1d8e, v2, -v4
	v_dual_mul_f32 v49, 0x3f06c442, v53 :: v_dual_add_f32 v40, v119, v54
	s_delay_alu instid0(VALU_DEP_4) | instskip(SKIP_3) | instid1(VALU_DEP_4)
	v_add_f32_e32 v0, v0, v8
	v_dual_add_f32 v39, v196, v39 :: v_dual_add_f32 v54, v121, v58
	v_add_f32_e32 v38, v163, v149
	v_fmac_f32_e32 v4, 0xbe8c1d8e, v2
	v_add_f32_e32 v0, v0, v10
	v_fma_f32 v145, 0xbf59a7d5, v50, -v145
	v_add_f32_e32 v35, v141, v35
	v_dual_add_f32 v45, v136, v54 :: v_dual_add_f32 v58, v123, v60
	s_delay_alu instid0(VALU_DEP_4)
	v_add_f32_e32 v0, v0, v32
	v_fma_f32 v32, 0x3f3d2fb0, v50, -v51
	v_dual_add_f32 v14, v41, v14 :: v_dual_add_f32 v41, v120, v55
	v_add_f32_e32 v22, v161, v147
	v_add_f32_e32 v55, v122, v59
	;; [unrolled: 1-line block ×4, first 2 shown]
	v_dual_add_f32 v61, v184, v69 :: v_dual_add_f32 v56, v165, v151
	v_dual_add_f32 v41, v142, v41 :: v_dual_add_f32 v22, v175, v22
	v_add_f32_e32 v15, v48, v15
	s_delay_alu instid0(VALU_DEP_3) | instskip(SKIP_1) | instid1(VALU_DEP_4)
	v_add_f32_e32 v7, v199, v61
	v_dual_add_f32 v13, v32, v13 :: v_dual_add_f32 v14, v46, v14
	v_dual_add_f32 v22, v188, v22 :: v_dual_mul_f32 v51, 0xbeb8f4ab, v52
	v_add_f32_e32 v42, v179, v56
	v_add_f32_e32 v46, v143, v55
	v_dual_add_f32 v55, v144, v59 :: v_dual_add_f32 v56, v181, v66
	v_fmamk_f32 v32, v3, 0xbe8c1d8e, v5
	v_add_f32_e32 v20, v133, v20
	v_add_f32_e32 v14, v44, v14
	v_fma_f32 v5, 0xbe8c1d8e, v3, -v5
	v_dual_add_f32 v47, v191, v56 :: v_dual_add_f32 v34, v82, v34
	v_add_f32_e32 v15, v32, v15
	v_fma_f32 v32, 0xbf59a7d5, v2, -v49
	v_mul_f32_e32 v44, 0x3f06c442, v52
	v_dual_add_f32 v4, v4, v20 :: v_dual_add_f32 v5, v5, v21
	s_delay_alu instid0(VALU_DEP_3) | instskip(NEXT) | instid1(VALU_DEP_3)
	v_dual_mul_f32 v20, 0x3f2c7751, v53 :: v_dual_add_f32 v21, v32, v22
	v_fma_f32 v32, 0xbf59a7d5, v3, -v44
	v_mul_f32_e32 v50, 0x3f2c7751, v52
	v_dual_add_f32 v38, v177, v38 :: v_dual_add_f32 v23, v195, v23
	v_add_f32_e32 v34, v134, v34
	v_dual_fmamk_f32 v22, v3, 0xbf59a7d5, v44 :: v_dual_fmac_f32 v49, 0xbf59a7d5, v2
	v_fma_f32 v44, 0x3f3d2fb0, v2, -v20
	v_dual_add_f32 v32, v32, v35 :: v_dual_fmamk_f32 v35, v3, 0x3f3d2fb0, v50
	v_add_f32_e32 v38, v189, v38
	v_add_f32_e32 v60, v183, v68
	v_dual_add_f32 v22, v22, v23 :: v_dual_add_f32 v23, v49, v34
	v_fmac_f32_e32 v20, 0x3f3d2fb0, v2
	s_delay_alu instid0(VALU_DEP_4)
	v_add_f32_e32 v34, v44, v38
	v_mul_f32_e32 v38, 0xbf65296c, v53
	v_fma_f32 v44, 0x3f3d2fb0, v3, -v50
	v_mul_f32_e32 v49, 0xbf65296c, v52
	v_add_f32_e32 v40, v135, v40
	v_add_f32_e32 v70, v171, v157
	;; [unrolled: 1-line block ×3, first 2 shown]
	v_dual_add_f32 v42, v190, v42 :: v_dual_add_f32 v35, v35, v39
	v_fma_f32 v39, 0x3ee437d1, v2, -v38
	v_add_f32_e32 v20, v20, v40
	v_dual_add_f32 v40, v44, v41 :: v_dual_fmamk_f32 v41, v3, 0x3ee437d1, v49
	v_mul_f32_e32 v44, 0xbe3c28d5, v53
	v_fmac_f32_e32 v38, 0x3ee437d1, v2
	v_add_f32_e32 v62, v125, v62
	v_add_f32_e32 v66, v185, v70
	v_dual_add_f32 v48, v198, v57 :: v_dual_add_f32 v57, v200, v67
	v_dual_add_f32 v64, v127, v64 :: v_dual_add_f32 v41, v41, v43
	v_add_f32_e32 v39, v39, v42
	v_fma_f32 v42, 0x3ee437d1, v3, -v49
	v_fma_f32 v43, 0xbf7ba420, v2, -v44
	v_dual_mul_f32 v49, 0xbe3c28d5, v52 :: v_dual_add_f32 v38, v38, v45
	v_dual_mul_f32 v45, 0x3f7ee86f, v53 :: v_dual_add_f32 v6, v192, v60
	s_delay_alu instid0(VALU_DEP_3) | instskip(NEXT) | instid1(VALU_DEP_3)
	v_dual_add_f32 v42, v42, v46 :: v_dual_add_f32 v43, v43, v47
	v_fmamk_f32 v46, v3, 0xbf7ba420, v49
	v_fma_f32 v47, 0xbf7ba420, v3, -v49
	s_delay_alu instid0(VALU_DEP_4)
	v_fma_f32 v49, 0x3dbcf732, v2, -v45
	v_mul_f32_e32 v50, 0x3f7ee86f, v52
	v_add_f32_e32 v68, v187, v72
	v_add_f32_e32 v46, v46, v48
	;; [unrolled: 1-line block ×4, first 2 shown]
	v_fmamk_f32 v48, v3, 0x3dbcf732, v50
	v_mul_f32_e32 v49, 0xbeb8f4ab, v53
	v_fmac_f32_e32 v44, 0xbf7ba420, v2
	v_add_f32_e32 v9, v193, v66
	v_fma_f32 v50, 0x3dbcf732, v3, -v50
	v_add_f32_e32 v7, v48, v7
	v_fma_f32 v48, 0x3f6eb680, v2, -v49
	v_fmac_f32_e32 v49, 0x3f6eb680, v2
	v_dual_add_f32 v47, v47, v55 :: v_dual_mul_f32 v52, 0xbf4c4adb, v52
	v_fmac_f32_e32 v45, 0x3dbcf732, v2
	s_delay_alu instid0(VALU_DEP_3) | instskip(SKIP_2) | instid1(VALU_DEP_2)
	v_dual_add_f32 v9, v48, v9 :: v_dual_add_f32 v10, v49, v10
	v_sub_f32_e32 v49, v25, v31
	v_add_f32_e32 v54, v137, v58
	v_dual_add_f32 v58, v194, v68 :: v_dual_mul_f32 v55, 0xbf4c4adb, v49
	s_delay_alu instid0(VALU_DEP_2) | instskip(SKIP_2) | instid1(VALU_DEP_2)
	v_add_f32_e32 v44, v44, v54
	v_fmamk_f32 v54, v3, 0x3f6eb680, v51
	v_fma_f32 v51, 0x3f6eb680, v3, -v51
	v_add_f32_e32 v48, v54, v57
	v_add_f32_e32 v54, v30, v24
	;; [unrolled: 1-line block ×3, first 2 shown]
	s_delay_alu instid0(VALU_DEP_4) | instskip(NEXT) | instid1(VALU_DEP_2)
	v_dual_sub_f32 v24, v24, v30 :: v_dual_add_f32 v11, v51, v11
	v_add_f32_e32 v8, v50, v8
	v_mul_f32_e32 v50, 0xbf4c4adb, v53
	s_delay_alu instid0(VALU_DEP_3) | instskip(NEXT) | instid1(VALU_DEP_2)
	v_mul_f32_e32 v30, 0xbf4c4adb, v24
	v_fma_f32 v53, 0xbf1a4643, v2, -v50
	v_fmac_f32_e32 v50, 0xbf1a4643, v2
	v_fma_f32 v2, 0xbf1a4643, v3, -v52
	s_delay_alu instid0(VALU_DEP_3) | instskip(SKIP_4) | instid1(VALU_DEP_4)
	v_add_f32_e32 v51, v53, v58
	v_fmamk_f32 v53, v3, 0xbf1a4643, v52
	v_add_f32_e32 v3, v31, v25
	v_fma_f32 v25, 0xbf1a4643, v54, -v55
	v_add_f32_e32 v2, v2, v13
	v_dual_add_f32 v12, v50, v12 :: v_dual_add_f32 v31, v53, v33
	v_mul_f32_e32 v33, 0x3f763a35, v24
	s_delay_alu instid0(VALU_DEP_4)
	v_dual_add_f32 v13, v25, v14 :: v_dual_fmamk_f32 v14, v3, 0xbf1a4643, v30
	v_mul_f32_e32 v25, 0x3f763a35, v49
	v_fma_f32 v30, 0xbf1a4643, v3, -v30
	v_mul_f32_e32 v50, 0xbeb8f4ab, v49
	v_mul_f32_e32 v52, 0xbf06c442, v24
	v_add_f32_e32 v14, v14, v15
	v_fma_f32 v15, 0xbe8c1d8e, v54, -v25
	v_dual_add_f32 v5, v30, v5 :: v_dual_fmamk_f32 v30, v3, 0xbe8c1d8e, v33
	v_fmac_f32_e32 v25, 0xbe8c1d8e, v54
	s_delay_alu instid0(VALU_DEP_3) | instskip(SKIP_1) | instid1(VALU_DEP_4)
	v_dual_add_f32 v56, v138, v62 :: v_dual_add_f32 v15, v15, v21
	v_fma_f32 v21, 0xbe8c1d8e, v3, -v33
	v_add_f32_e32 v22, v30, v22
	v_fma_f32 v30, 0x3f6eb680, v54, -v50
	v_mul_f32_e32 v33, 0xbeb8f4ab, v24
	v_add_f32_e32 v23, v25, v23
	v_mul_f32_e32 v25, 0xbf06c442, v49
	s_delay_alu instid0(VALU_DEP_4) | instskip(NEXT) | instid1(VALU_DEP_4)
	v_dual_add_f32 v21, v21, v32 :: v_dual_add_f32 v30, v30, v34
	v_dual_fmamk_f32 v32, v3, 0x3f6eb680, v33 :: v_dual_add_f32 v53, v18, v16
	s_delay_alu instid0(VALU_DEP_3) | instskip(SKIP_2) | instid1(VALU_DEP_4)
	v_fma_f32 v34, 0xbf59a7d5, v54, -v25
	v_fmac_f32_e32 v50, 0x3f6eb680, v54
	v_fma_f32 v33, 0x3f6eb680, v3, -v33
	v_dual_add_f32 v32, v32, v35 :: v_dual_fmamk_f32 v35, v3, 0xbf59a7d5, v52
	s_delay_alu instid0(VALU_DEP_4) | instskip(NEXT) | instid1(VALU_DEP_4)
	v_dual_add_f32 v34, v34, v39 :: v_dual_mul_f32 v39, 0x3f7ee86f, v49
	v_add_f32_e32 v20, v50, v20
	s_delay_alu instid0(VALU_DEP_4) | instskip(SKIP_4) | instid1(VALU_DEP_4)
	v_add_f32_e32 v33, v33, v40
	v_fmac_f32_e32 v25, 0xbf59a7d5, v54
	v_fma_f32 v40, 0xbf59a7d5, v3, -v52
	v_dual_mul_f32 v50, 0x3f7ee86f, v24 :: v_dual_add_f32 v35, v35, v41
	v_fma_f32 v41, 0x3dbcf732, v54, -v39
	v_add_f32_e32 v25, v25, v38
	s_delay_alu instid0(VALU_DEP_4) | instskip(NEXT) | instid1(VALU_DEP_4)
	v_add_f32_e32 v38, v40, v42
	v_fmamk_f32 v40, v3, 0x3dbcf732, v50
	s_delay_alu instid0(VALU_DEP_4) | instskip(SKIP_2) | instid1(VALU_DEP_4)
	v_dual_mul_f32 v42, 0xbf2c7751, v49 :: v_dual_add_f32 v41, v41, v43
	v_fma_f32 v43, 0x3dbcf732, v3, -v50
	v_mul_f32_e32 v50, 0xbf2c7751, v24
	v_dual_add_f32 v45, v45, v56 :: v_dual_add_f32 v40, v40, v46
	s_delay_alu instid0(VALU_DEP_4) | instskip(NEXT) | instid1(VALU_DEP_4)
	v_fma_f32 v46, 0x3f3d2fb0, v54, -v42
	v_dual_add_f32 v43, v43, v47 :: v_dual_fmac_f32 v42, 0x3f3d2fb0, v54
	s_delay_alu instid0(VALU_DEP_4)
	v_fma_f32 v47, 0x3f3d2fb0, v3, -v50
	v_mul_f32_e32 v52, 0xbe3c28d5, v24
	v_fmac_f32_e32 v39, 0x3dbcf732, v54
	v_mul_f32_e32 v24, 0x3f65296c, v24
	v_add_f32_e32 v42, v42, v45
	v_add_f32_e32 v8, v47, v8
	v_fmamk_f32 v45, v3, 0xbf7ba420, v52
	v_fma_f32 v47, 0xbf7ba420, v3, -v52
	v_sub_f32_e32 v52, v17, v19
	v_add_f32_e32 v6, v46, v6
	v_fmamk_f32 v46, v3, 0x3f3d2fb0, v50
	v_dual_add_f32 v39, v39, v44 :: v_dual_mul_f32 v44, 0xbe3c28d5, v49
	v_add_f32_e32 v45, v45, v48
	v_add_f32_e32 v11, v47, v11
	s_delay_alu instid0(VALU_DEP_4) | instskip(NEXT) | instid1(VALU_DEP_4)
	v_dual_add_f32 v7, v46, v7 :: v_dual_mul_f32 v46, 0x3f65296c, v49
	v_fma_f32 v50, 0xbf7ba420, v54, -v44
	v_fmac_f32_e32 v44, 0xbf7ba420, v54
	v_fmamk_f32 v49, v3, 0x3ee437d1, v24
	v_fma_f32 v3, 0x3ee437d1, v3, -v24
	v_fma_f32 v48, 0x3ee437d1, v54, -v46
	v_fmac_f32_e32 v46, 0x3ee437d1, v54
	v_add_f32_e32 v10, v44, v10
	v_sub_f32_e32 v44, v27, v29
	v_add_f32_e32 v24, v29, v27
	v_add_f32_e32 v47, v48, v51
	v_add_f32_e32 v48, v28, v26
	v_sub_f32_e32 v26, v26, v28
	v_mul_f32_e32 v28, 0xbf06c442, v44
	v_add_f32_e32 v12, v46, v12
	v_dual_add_f32 v2, v3, v2 :: v_dual_mul_f32 v3, 0x3f65296c, v44
	s_delay_alu instid0(VALU_DEP_4) | instskip(NEXT) | instid1(VALU_DEP_4)
	v_mul_f32_e32 v27, 0xbf06c442, v26
	v_fma_f32 v29, 0xbf59a7d5, v48, -v28
	v_dual_fmac_f32 v28, 0xbf59a7d5, v48 :: v_dual_add_f32 v31, v49, v31
	s_delay_alu instid0(VALU_DEP_3) | instskip(NEXT) | instid1(VALU_DEP_3)
	v_dual_add_f32 v9, v50, v9 :: v_dual_fmamk_f32 v46, v24, 0xbf59a7d5, v27
	v_add_f32_e32 v13, v29, v13
	v_fma_f32 v27, 0xbf59a7d5, v24, -v27
	v_fma_f32 v29, 0x3ee437d1, v48, -v3
	s_delay_alu instid0(VALU_DEP_4) | instskip(NEXT) | instid1(VALU_DEP_3)
	v_dual_fmac_f32 v3, 0x3ee437d1, v48 :: v_dual_add_f32 v14, v46, v14
	v_dual_mul_f32 v46, 0x3f65296c, v26 :: v_dual_add_f32 v27, v27, v5
	s_delay_alu instid0(VALU_DEP_3) | instskip(NEXT) | instid1(VALU_DEP_3)
	v_add_f32_e32 v15, v29, v15
	v_add_f32_e32 v23, v3, v23
	s_delay_alu instid0(VALU_DEP_3) | instskip(SKIP_2) | instid1(VALU_DEP_3)
	v_fmamk_f32 v5, v24, 0x3ee437d1, v46
	v_fma_f32 v29, 0x3ee437d1, v24, -v46
	v_mul_f32_e32 v46, 0xbf7ee86f, v26
	v_add_f32_e32 v22, v5, v22
	s_delay_alu instid0(VALU_DEP_3) | instskip(NEXT) | instid1(VALU_DEP_3)
	v_add_f32_e32 v21, v29, v21
	v_fmamk_f32 v3, v24, 0x3dbcf732, v46
	s_delay_alu instid0(VALU_DEP_1) | instskip(SKIP_3) | instid1(VALU_DEP_3)
	v_dual_add_f32 v32, v3, v32 :: v_dual_mul_f32 v3, 0x3f4c4adb, v26
	v_dual_fmac_f32 v55, 0xbf1a4643, v54 :: v_dual_add_f32 v54, v19, v17
	v_mul_f32_e32 v17, 0x3f2c7751, v52
	v_mul_f32_e32 v5, 0x3f4c4adb, v44
	v_add_f32_e32 v4, v55, v4
	s_delay_alu instid0(VALU_DEP_1) | instskip(SKIP_1) | instid1(VALU_DEP_1)
	v_add_f32_e32 v28, v28, v4
	v_mul_f32_e32 v4, 0xbf7ee86f, v44
	v_fma_f32 v49, 0x3dbcf732, v48, -v4
	s_delay_alu instid0(VALU_DEP_1) | instskip(SKIP_2) | instid1(VALU_DEP_3)
	v_dual_fmac_f32 v4, 0x3dbcf732, v48 :: v_dual_add_f32 v29, v49, v30
	v_fma_f32 v30, 0x3dbcf732, v24, -v46
	v_fma_f32 v46, 0xbf1a4643, v48, -v5
	v_add_f32_e32 v20, v4, v20
	v_mul_f32_e32 v4, 0xbeb8f4ab, v44
	s_delay_alu instid0(VALU_DEP_4) | instskip(NEXT) | instid1(VALU_DEP_4)
	v_dual_fmac_f32 v5, 0xbf1a4643, v48 :: v_dual_add_f32 v30, v30, v33
	v_dual_fmamk_f32 v33, v24, 0xbf1a4643, v3 :: v_dual_add_f32 v34, v46, v34
	v_fma_f32 v3, 0xbf1a4643, v24, -v3
	s_delay_alu instid0(VALU_DEP_4) | instskip(NEXT) | instid1(VALU_DEP_4)
	v_fma_f32 v46, 0x3f6eb680, v48, -v4
	v_add_f32_e32 v25, v5, v25
	s_delay_alu instid0(VALU_DEP_4) | instskip(SKIP_1) | instid1(VALU_DEP_4)
	v_add_f32_e32 v33, v33, v35
	v_mul_f32_e32 v35, 0xbeb8f4ab, v26
	v_dual_add_f32 v38, v3, v38 :: v_dual_add_f32 v41, v46, v41
	v_mul_f32_e32 v3, 0xbe3c28d5, v44
	s_delay_alu instid0(VALU_DEP_3) | instskip(SKIP_2) | instid1(VALU_DEP_4)
	v_dual_fmac_f32 v4, 0x3f6eb680, v48 :: v_dual_fmamk_f32 v5, v24, 0x3f6eb680, v35
	v_mul_f32_e32 v46, 0xbe3c28d5, v26
	v_fma_f32 v35, 0x3f6eb680, v24, -v35
	v_fma_f32 v49, 0xbf7ba420, v48, -v3
	s_delay_alu instid0(VALU_DEP_4) | instskip(NEXT) | instid1(VALU_DEP_4)
	v_dual_add_f32 v39, v4, v39 :: v_dual_add_f32 v40, v5, v40
	v_fmamk_f32 v4, v24, 0xbf7ba420, v46
	v_mul_f32_e32 v5, 0x3f2c7751, v44
	v_fmac_f32_e32 v3, 0xbf7ba420, v48
	v_add_f32_e32 v35, v35, v43
	v_add_f32_e32 v43, v49, v6
	v_fma_f32 v6, 0xbf7ba420, v24, -v46
	v_add_f32_e32 v46, v4, v7
	v_fma_f32 v7, 0x3f3d2fb0, v48, -v5
	v_dual_add_f32 v42, v3, v42 :: v_dual_mul_f32 v3, 0xbf763a35, v44
	v_fmac_f32_e32 v5, 0x3f3d2fb0, v48
	s_delay_alu instid0(VALU_DEP_3) | instskip(SKIP_1) | instid1(VALU_DEP_4)
	v_dual_add_f32 v49, v6, v8 :: v_dual_add_f32 v44, v7, v9
	v_mul_f32_e32 v9, 0x3eb8f4ab, v52
	v_fma_f32 v7, 0xbe8c1d8e, v48, -v3
	v_dual_fmac_f32 v3, 0xbe8c1d8e, v48 :: v_dual_sub_f32 v48, v16, v18
	v_dual_add_f32 v50, v5, v10 :: v_dual_mul_f32 v5, 0xbe3c28d5, v52
	s_delay_alu instid0(VALU_DEP_3) | instskip(NEXT) | instid1(VALU_DEP_3)
	v_add_f32_e32 v47, v7, v47
	v_add_f32_e32 v56, v3, v12
	s_delay_alu instid0(VALU_DEP_4) | instskip(SKIP_3) | instid1(VALU_DEP_4)
	v_mul_f32_e32 v8, 0x3eb8f4ab, v48
	v_mul_f32_e32 v7, 0xbe3c28d5, v48
	;; [unrolled: 1-line block ×4, first 2 shown]
	v_fma_f32 v10, 0x3f6eb680, v54, -v8
	s_delay_alu instid0(VALU_DEP_2) | instskip(NEXT) | instid1(VALU_DEP_2)
	v_fmamk_f32 v18, v54, 0x3f3d2fb0, v16
	v_dual_add_f32 v10, v10, v21 :: v_dual_mul_f32 v21, 0xbf4c4adb, v52
	s_delay_alu instid0(VALU_DEP_1) | instskip(SKIP_1) | instid1(VALU_DEP_2)
	v_fma_f32 v19, 0xbf1a4643, v53, -v21
	v_fmac_f32_e32 v21, 0xbf1a4643, v53
	v_dual_mul_f32 v4, 0x3f2c7751, v26 :: v_dual_add_f32 v19, v19, v41
	s_delay_alu instid0(VALU_DEP_1) | instskip(SKIP_1) | instid1(VALU_DEP_2)
	v_dual_add_f32 v21, v21, v39 :: v_dual_fmamk_f32 v6, v24, 0x3f3d2fb0, v4
	v_fma_f32 v4, 0x3f3d2fb0, v24, -v4
	v_dual_add_f32 v45, v6, v45 :: v_dual_mul_f32 v6, 0xbf763a35, v26
	s_delay_alu instid0(VALU_DEP_2) | instskip(NEXT) | instid1(VALU_DEP_2)
	v_add_f32_e32 v51, v4, v11
	v_fmamk_f32 v4, v24, 0xbe8c1d8e, v6
	v_fma_f32 v6, 0xbe8c1d8e, v24, -v6
	s_delay_alu instid0(VALU_DEP_2) | instskip(SKIP_2) | instid1(VALU_DEP_2)
	v_add_f32_e32 v55, v4, v31
	v_fma_f32 v4, 0xbf7ba420, v53, -v5
	v_fmac_f32_e32 v5, 0xbf7ba420, v53
	v_add_f32_e32 v3, v4, v13
	v_mul_f32_e32 v13, 0xbf06c442, v52
	s_delay_alu instid0(VALU_DEP_1) | instskip(SKIP_1) | instid1(VALU_DEP_2)
	v_fma_f32 v11, 0xbf59a7d5, v53, -v13
	v_fmac_f32_e32 v13, 0xbf59a7d5, v53
	v_add_f32_e32 v11, v11, v29
	v_mul_f32_e32 v29, 0xbf763a35, v52
	v_add_f32_e32 v57, v6, v2
	v_fmamk_f32 v2, v54, 0xbf7ba420, v7
	v_fma_f32 v6, 0xbf7ba420, v54, -v7
	v_add_f32_e32 v13, v13, v20
	v_mul_f32_e32 v20, 0xbf4c4adb, v48
	s_delay_alu instid0(VALU_DEP_4)
	v_add_f32_e32 v4, v2, v14
	v_fma_f32 v2, 0x3f6eb680, v53, -v9
	v_fmac_f32_e32 v9, 0x3f6eb680, v53
	v_fma_f32 v14, 0xbf59a7d5, v54, -v12
	v_add_f32_e32 v6, v6, v27
	v_fma_f32 v27, 0xbe8c1d8e, v53, -v29
	v_add_f32_e32 v7, v2, v15
	v_dual_fmamk_f32 v2, v54, 0x3f6eb680, v8 :: v_dual_add_f32 v9, v9, v23
	v_fma_f32 v23, 0xbf1a4643, v54, -v20
	v_add_f32_e32 v14, v14, v30
	v_mul_f32_e32 v30, 0xbf763a35, v48
	s_delay_alu instid0(VALU_DEP_4) | instskip(SKIP_2) | instid1(VALU_DEP_2)
	v_add_f32_e32 v8, v2, v22
	v_fmamk_f32 v22, v54, 0xbf1a4643, v20
	v_dual_fmamk_f32 v2, v54, 0xbf59a7d5, v12 :: v_dual_add_f32 v27, v27, v44
	v_dual_fmac_f32 v29, 0xbe8c1d8e, v53 :: v_dual_add_f32 v20, v22, v40
	v_add_f32_e32 v22, v23, v35
	v_mul_lo_u16 v35, v36, 17
	s_delay_alu instid0(VALU_DEP_3) | instskip(NEXT) | instid1(VALU_DEP_2)
	v_add_f32_e32 v29, v29, v50
	v_dual_add_f32 v12, v2, v32 :: v_dual_and_b32 v35, 0xffff, v35
	v_fma_f32 v2, 0x3f3d2fb0, v53, -v17
	v_fmac_f32_e32 v17, 0x3f3d2fb0, v53
	v_mul_f32_e32 v32, 0x3f7ee86f, v48
	s_delay_alu instid0(VALU_DEP_3) | instskip(SKIP_4) | instid1(VALU_DEP_4)
	v_dual_add_f32 v15, v2, v34 :: v_dual_lshlrev_b32 v134, 3, v35
	v_fma_f32 v2, 0x3f3d2fb0, v54, -v16
	v_add_f32_e32 v16, v18, v33
	v_add_f32_e32 v17, v17, v25
	v_mul_f32_e32 v25, 0x3f65296c, v48
	v_dual_mul_f32 v33, 0x3f7ee86f, v52 :: v_dual_add_f32 v18, v2, v38
	v_mul_f32_e32 v2, 0x3f65296c, v52
	v_and_b32_e32 v34, 0xff, v36
	s_delay_alu instid0(VALU_DEP_4) | instskip(NEXT) | instid1(VALU_DEP_4)
	v_fma_f32 v26, 0x3ee437d1, v54, -v25
	v_fma_f32 v31, 0x3dbcf732, v53, -v33
	;; [unrolled: 1-line block ×4, first 2 shown]
	v_fmac_f32_e32 v2, 0x3ee437d1, v53
	v_mul_lo_u16 v34, 0xf1, v34
	v_add_f32_e32 v31, v31, v47
	v_add_f32_e32 v5, v5, v28
	v_dual_add_f32 v23, v24, v43 :: v_dual_fmamk_f32 v24, v54, 0x3ee437d1, v25
	v_add_f32_e32 v25, v2, v42
	v_fma_f32 v2, 0xbe8c1d8e, v54, -v30
	v_fmamk_f32 v28, v54, 0xbe8c1d8e, v30
	s_delay_alu instid0(VALU_DEP_4) | instskip(SKIP_1) | instid1(VALU_DEP_4)
	v_dual_fmac_f32 v33, 0x3dbcf732, v53 :: v_dual_add_f32 v24, v24, v46
	v_add_f32_e32 v26, v26, v49
	v_add_f32_e32 v30, v2, v51
	v_fmamk_f32 v2, v54, 0x3dbcf732, v32
	v_add_f32_e32 v28, v28, v45
	ds_store_2addr_b64 v134, v[0:1], v[3:4] offset1:1
	ds_store_2addr_b64 v134, v[7:8], v[11:12] offset0:2 offset1:3
	ds_store_2addr_b64 v134, v[15:16], v[19:20] offset0:4 offset1:5
	;; [unrolled: 1-line block ×3, first 2 shown]
	v_dual_add_f32 v33, v33, v56 :: v_dual_add_f32 v32, v2, v55
	v_lshrrev_b16 v2, 12, v34
	v_add_f32_e32 v34, v38, v57
	ds_store_2addr_b64 v134, v[31:32], v[33:34] offset0:8 offset1:9
	ds_store_2addr_b64 v134, v[29:30], v[25:26] offset0:10 offset1:11
	;; [unrolled: 1-line block ×4, first 2 shown]
	ds_store_b64 v134, v[5:6] offset:128
	v_mul_lo_u16 v38, v2, 17
	global_wb scope:SCOPE_SE
	s_wait_dscnt 0x0
	s_barrier_signal -1
	s_barrier_wait -1
	global_inv scope:SCOPE_SE
	v_sub_nc_u16 v35, v36, v38
	v_and_b32_e32 v2, 0xffff, v2
	s_delay_alu instid0(VALU_DEP_2) | instskip(NEXT) | instid1(VALU_DEP_2)
	v_and_b32_e32 v3, 0xff, v35
	v_mul_u32_u24_e32 v2, 0x121, v2
	s_delay_alu instid0(VALU_DEP_2)
	v_lshlrev_b32_e32 v0, 7, v3
	s_clause 0x7
	global_load_b128 v[32:35], v0, s[10:11]
	global_load_b128 v[28:31], v0, s[10:11] offset:16
	global_load_b128 v[24:27], v0, s[10:11] offset:32
	;; [unrolled: 1-line block ×7, first 2 shown]
	ds_load_2addr_b64 v[55:58], v129 offset1:51
	ds_load_2addr_b64 v[38:41], v129 offset0:102 offset1:153
	ds_load_2addr_b64 v[42:45], v129 offset0:204 offset1:255
	;; [unrolled: 1-line block ×7, first 2 shown]
	ds_load_b64 v[0:1], v129 offset:6528
	global_wb scope:SCOPE_SE
	s_wait_loadcnt_dscnt 0x0
	s_barrier_signal -1
	s_barrier_wait -1
	global_inv scope:SCOPE_SE
	v_mul_f32_e32 v37, v58, v33
	v_dual_mul_f32 v79, v57, v33 :: v_dual_mul_f32 v80, v38, v35
	v_dual_mul_f32 v46, v41, v29 :: v_dual_mul_f32 v53, v42, v31
	s_delay_alu instid0(VALU_DEP_3) | instskip(SKIP_1) | instid1(VALU_DEP_4)
	v_fma_f32 v57, v57, v32, -v37
	v_mul_f32_e32 v37, v39, v35
	v_dual_fmac_f32 v79, v58, v32 :: v_dual_mul_f32 v58, v40, v29
	v_fmac_f32_e32 v80, v39, v34
	v_fma_f32 v82, v40, v28, -v46
	s_delay_alu instid0(VALU_DEP_4) | instskip(SKIP_4) | instid1(VALU_DEP_4)
	v_fma_f32 v81, v38, v34, -v37
	v_mul_f32_e32 v37, v43, v31
	v_dual_add_f32 v39, v56, v79 :: v_dual_fmac_f32 v58, v41, v28
	v_mul_f32_e32 v38, v45, v25
	v_mul_f32_e32 v49, v44, v25
	v_fma_f32 v54, v42, v30, -v37
	v_mul_f32_e32 v37, v60, v27
	v_add_f32_e32 v39, v39, v80
	v_fmac_f32_e32 v53, v43, v30
	v_fma_f32 v50, v44, v24, -v38
	v_fmac_f32_e32 v49, v45, v24
	v_fma_f32 v46, v59, v26, -v37
	v_add_f32_e32 v37, v55, v57
	v_dual_add_f32 v44, v39, v58 :: v_dual_mul_f32 v43, v66, v21
	v_mul_f32_e32 v48, v68, v23
	v_mul_f32_e32 v38, v62, v9
	s_delay_alu instid0(VALU_DEP_4) | instskip(NEXT) | instid1(VALU_DEP_4)
	v_add_f32_e32 v37, v37, v81
	v_add_f32_e32 v44, v44, v53
	v_mul_f32_e32 v39, v65, v21
	v_mul_f32_e32 v45, v59, v27
	v_fma_f32 v42, v61, v8, -v38
	s_delay_alu instid0(VALU_DEP_4) | instskip(SKIP_2) | instid1(VALU_DEP_3)
	v_dual_add_f32 v40, v37, v82 :: v_dual_add_f32 v51, v44, v49
	v_fma_f32 v44, v67, v22, -v48
	v_dual_fmac_f32 v39, v66, v20 :: v_dual_mul_f32 v66, v0, v7
	v_add_f32_e32 v47, v40, v54
	v_fma_f32 v40, v65, v20, -v43
	v_mul_f32_e32 v43, v67, v23
	v_mul_f32_e32 v67, v1, v7
	v_mul_f32_e32 v41, v61, v9
	v_add_f32_e32 v47, v47, v50
	v_fmac_f32_e32 v45, v60, v26
	v_mul_f32_e32 v38, v64, v11
	v_fma_f32 v0, v0, v6, -v67
	v_fmac_f32_e32 v66, v1, v6
	v_add_f32_e32 v47, v47, v46
	v_fmac_f32_e32 v41, v62, v8
	v_mul_f32_e32 v37, v63, v11
	v_sub_f32_e32 v67, v57, v0
	s_delay_alu instid0(VALU_DEP_4)
	v_dual_add_f32 v57, v57, v0 :: v_dual_add_f32 v52, v47, v42
	v_mul_f32_e32 v47, v69, v17
	v_fma_f32 v38, v63, v10, -v38
	v_mul_f32_e32 v48, v70, v17
	v_add_f32_e32 v51, v51, v45
	v_mul_f32_e32 v119, 0xbf7ee86f, v67
	v_dual_fmac_f32 v47, v70, v16 :: v_dual_add_f32 v70, v79, v66
	v_fmac_f32_e32 v37, v64, v10
	v_mul_f32_e32 v59, v72, v19
	v_add_f32_e32 v61, v52, v38
	v_fmac_f32_e32 v43, v68, v22
	v_fmamk_f32 v121, v70, 0x3dbcf732, v119
	v_fma_f32 v119, 0x3dbcf732, v70, -v119
	v_add_f32_e32 v60, v51, v41
	v_fma_f32 v52, v71, v18, -v59
	v_fma_f32 v48, v69, v16, -v48
	v_add_f32_e32 v121, v56, v121
	v_add_f32_e32 v119, v56, v119
	v_dual_add_f32 v59, v60, v37 :: v_dual_add_f32 v60, v61, v40
	v_mul_f32_e32 v51, v71, v19
	v_dual_mul_f32 v61, v74, v13 :: v_dual_mul_f32 v128, 0xbf4c4adb, v67
	s_delay_alu instid0(VALU_DEP_3) | instskip(NEXT) | instid1(VALU_DEP_3)
	v_dual_add_f32 v59, v59, v39 :: v_dual_add_f32 v60, v60, v44
	v_dual_mul_f32 v62, v73, v13 :: v_dual_fmac_f32 v51, v72, v18
	s_delay_alu instid0(VALU_DEP_3) | instskip(NEXT) | instid1(VALU_DEP_3)
	v_fma_f32 v61, v73, v12, -v61
	v_dual_add_f32 v59, v59, v43 :: v_dual_add_f32 v60, v60, v48
	v_fmamk_f32 v133, v70, 0xbf1a4643, v128
	s_delay_alu instid0(VALU_DEP_4) | instskip(NEXT) | instid1(VALU_DEP_3)
	v_dual_mul_f32 v63, v76, v15 :: v_dual_fmac_f32 v62, v74, v12
	v_dual_add_f32 v59, v59, v47 :: v_dual_add_f32 v60, v60, v52
	v_mul_f32_e32 v68, v77, v5
	s_delay_alu instid0(VALU_DEP_3) | instskip(SKIP_1) | instid1(VALU_DEP_4)
	v_fma_f32 v63, v75, v14, -v63
	v_mul_f32_e32 v65, v78, v5
	v_dual_add_f32 v59, v59, v51 :: v_dual_add_f32 v60, v60, v61
	s_delay_alu instid0(VALU_DEP_4) | instskip(NEXT) | instid1(VALU_DEP_2)
	v_dual_fmac_f32 v68, v78, v4 :: v_dual_mul_f32 v71, 0xbeb8f4ab, v67
	v_dual_mul_f32 v74, 0xbf2c7751, v67 :: v_dual_add_f32 v1, v59, v62
	v_mul_f32_e32 v78, 0xbf65296c, v67
	v_mul_f32_e32 v124, 0xbf763a35, v67
	v_dual_mul_f32 v136, 0xbf06c442, v67 :: v_dual_add_f32 v133, v56, v133
	v_mul_f32_e32 v67, 0xbe3c28d5, v67
	v_dual_add_f32 v59, v60, v63 :: v_dual_sub_f32 v60, v79, v66
	v_mul_f32_e32 v64, v75, v15
	v_fma_f32 v65, v77, v4, -v65
	s_delay_alu instid0(VALU_DEP_2) | instskip(SKIP_1) | instid1(VALU_DEP_3)
	v_dual_mul_f32 v125, 0xbf4c4adb, v60 :: v_dual_fmac_f32 v64, v76, v14
	v_mul_f32_e32 v135, 0xbf06c442, v60
	v_add_f32_e32 v59, v59, v65
	v_add_f32_e32 v142, v81, v65
	s_delay_alu instid0(VALU_DEP_4)
	v_fma_f32 v127, 0xbf1a4643, v57, -v125
	v_add_f32_e32 v1, v1, v64
	v_fma_f32 v137, 0xbf59a7d5, v57, -v135
	v_fmac_f32_e32 v135, 0xbf59a7d5, v57
	v_mul_f32_e32 v75, 0xbf65296c, v60
	v_dual_add_f32 v0, v59, v0 :: v_dual_fmamk_f32 v59, v70, 0x3f6eb680, v71
	v_fma_f32 v71, 0x3f6eb680, v70, -v71
	v_add_f32_e32 v137, v55, v137
	s_delay_alu instid0(VALU_DEP_4)
	v_fma_f32 v77, 0x3ee437d1, v57, -v75
	v_add_f32_e32 v1, v1, v68
	v_mul_f32_e32 v69, 0xbeb8f4ab, v60
	v_add_f32_e32 v71, v56, v71
	v_mul_f32_e32 v83, 0xbf7ee86f, v60
	v_dual_add_f32 v77, v55, v77 :: v_dual_mul_f32 v122, 0xbf763a35, v60
	v_dual_add_f32 v1, v1, v66 :: v_dual_mul_f32 v66, 0xbf2c7751, v60
	;; [unrolled: 1-line block ×3, first 2 shown]
	s_delay_alu instid0(VALU_DEP_3)
	v_fma_f32 v123, 0xbe8c1d8e, v57, -v122
	v_sub_f32_e32 v140, v80, v68
	v_fma_f32 v72, 0x3f6eb680, v57, -v69
	v_fma_f32 v120, 0x3dbcf732, v57, -v83
	v_fma_f32 v139, 0xbf7ba420, v57, -v60
	v_add_f32_e32 v123, v55, v123
	v_mul_f32_e32 v143, 0xbf2c7751, v140
	v_fmamk_f32 v138, v70, 0xbf59a7d5, v136
	v_dual_add_f32 v72, v55, v72 :: v_dual_sub_f32 v65, v81, v65
	v_fmac_f32_e32 v69, 0x3f6eb680, v57
	v_dual_fmac_f32 v75, 0x3ee437d1, v57 :: v_dual_add_f32 v120, v55, v120
	v_fmac_f32_e32 v83, 0x3dbcf732, v57
	v_fmac_f32_e32 v122, 0xbe8c1d8e, v57
	v_dual_fmac_f32 v125, 0xbf1a4643, v57 :: v_dual_add_f32 v138, v56, v138
	v_add_f32_e32 v139, v55, v139
	v_fma_f32 v73, 0x3f3d2fb0, v57, -v66
	v_fmac_f32_e32 v66, 0x3f3d2fb0, v57
	v_dual_fmamk_f32 v141, v70, 0xbf7ba420, v67 :: v_dual_fmac_f32 v60, 0xbf7ba420, v57
	v_fma_f32 v57, 0xbf7ba420, v70, -v67
	v_dual_add_f32 v67, v80, v68 :: v_dual_fmamk_f32 v76, v70, 0x3f3d2fb0, v74
	v_add_f32_e32 v59, v56, v59
	v_add_f32_e32 v69, v55, v69
	;; [unrolled: 1-line block ×8, first 2 shown]
	v_fma_f32 v136, 0xbf59a7d5, v70, -v136
	v_add_f32_e32 v135, v55, v135
	v_fma_f32 v68, 0x3f3d2fb0, v142, -v143
	v_add_f32_e32 v55, v55, v60
	v_dual_add_f32 v76, v56, v76 :: v_dual_fmac_f32 v143, 0x3f3d2fb0, v142
	v_fma_f32 v74, 0x3f3d2fb0, v70, -v74
	v_fmamk_f32 v126, v70, 0xbe8c1d8e, v124
	v_fma_f32 v124, 0xbe8c1d8e, v70, -v124
	v_fma_f32 v128, 0xbf1a4643, v70, -v128
	v_dual_add_f32 v136, v56, v136 :: v_dual_add_f32 v69, v143, v69
	v_fmamk_f32 v79, v70, 0x3ee437d1, v78
	v_fma_f32 v78, 0x3ee437d1, v70, -v78
	v_mul_f32_e32 v70, 0xbf2c7751, v65
	v_add_f32_e32 v74, v56, v74
	v_add_f32_e32 v126, v56, v126
	;; [unrolled: 1-line block ×3, first 2 shown]
	v_dual_add_f32 v78, v56, v78 :: v_dual_mul_f32 v81, 0xbf4c4adb, v140
	v_add_f32_e32 v124, v56, v124
	v_add_f32_e32 v128, v56, v128
	;; [unrolled: 1-line block ×4, first 2 shown]
	v_dual_add_f32 v57, v68, v72 :: v_dual_fmamk_f32 v60, v67, 0x3f3d2fb0, v70
	v_fma_f32 v70, 0x3f3d2fb0, v67, -v70
	v_mul_f32_e32 v72, 0xbf7ee86f, v65
	v_mul_f32_e32 v68, 0xbf7ee86f, v140
	;; [unrolled: 1-line block ×3, first 2 shown]
	v_add_f32_e32 v59, v60, v59
	s_delay_alu instid0(VALU_DEP_4) | instskip(NEXT) | instid1(VALU_DEP_4)
	v_dual_add_f32 v70, v70, v71 :: v_dual_fmamk_f32 v71, v67, 0x3dbcf732, v72
	v_fma_f32 v60, 0x3dbcf732, v142, -v68
	v_fmac_f32_e32 v68, 0x3dbcf732, v142
	v_fma_f32 v72, 0x3dbcf732, v67, -v72
	s_delay_alu instid0(VALU_DEP_4) | instskip(NEXT) | instid1(VALU_DEP_4)
	v_dual_add_f32 v71, v71, v76 :: v_dual_mul_f32 v76, 0xbf4c4adb, v65
	v_add_f32_e32 v60, v60, v73
	v_fma_f32 v73, 0xbf1a4643, v142, -v81
	v_add_f32_e32 v66, v68, v66
	v_add_f32_e32 v68, v72, v74
	v_fmamk_f32 v74, v67, 0xbf1a4643, v76
	v_fma_f32 v76, 0xbf1a4643, v67, -v76
	v_add_f32_e32 v73, v73, v77
	s_delay_alu instid0(VALU_DEP_3) | instskip(NEXT) | instid1(VALU_DEP_3)
	v_dual_fmac_f32 v81, 0xbf1a4643, v142 :: v_dual_add_f32 v74, v74, v79
	v_add_f32_e32 v76, v76, v78
	v_fmamk_f32 v78, v67, 0xbf7ba420, v141
	v_mul_f32_e32 v79, 0x3f06c442, v140
	s_delay_alu instid0(VALU_DEP_4)
	v_add_f32_e32 v75, v81, v75
	v_fma_f32 v81, 0xbf7ba420, v67, -v141
	v_mul_f32_e32 v141, 0x3f65296c, v65
	v_add_f32_e32 v78, v78, v121
	v_fma_f32 v121, 0xbf59a7d5, v142, -v79
	v_fmac_f32_e32 v79, 0xbf59a7d5, v142
	v_dual_mul_f32 v72, 0xbe3c28d5, v140 :: v_dual_add_f32 v81, v81, v119
	v_mul_f32_e32 v119, 0x3f763a35, v140
	s_delay_alu instid0(VALU_DEP_4) | instskip(NEXT) | instid1(VALU_DEP_4)
	v_add_f32_e32 v121, v121, v123
	v_add_f32_e32 v79, v79, v122
	s_delay_alu instid0(VALU_DEP_4) | instskip(SKIP_3) | instid1(VALU_DEP_4)
	v_fma_f32 v77, 0xbf7ba420, v142, -v72
	v_fmac_f32_e32 v72, 0xbf7ba420, v142
	v_fma_f32 v123, 0xbe8c1d8e, v142, -v119
	v_fmac_f32_e32 v119, 0xbe8c1d8e, v142
	v_dual_add_f32 v77, v77, v120 :: v_dual_mul_f32 v120, 0x3f06c442, v65
	s_delay_alu instid0(VALU_DEP_4) | instskip(NEXT) | instid1(VALU_DEP_4)
	v_add_f32_e32 v72, v72, v83
	v_dual_mul_f32 v122, 0x3f65296c, v140 :: v_dual_add_f32 v123, v123, v127
	s_delay_alu instid0(VALU_DEP_4) | instskip(NEXT) | instid1(VALU_DEP_4)
	v_add_f32_e32 v119, v119, v125
	v_fmamk_f32 v83, v67, 0xbf59a7d5, v120
	v_fma_f32 v120, 0xbf59a7d5, v67, -v120
	s_delay_alu instid0(VALU_DEP_2) | instskip(NEXT) | instid1(VALU_DEP_2)
	v_dual_add_f32 v83, v83, v126 :: v_dual_mul_f32 v126, 0x3f763a35, v65
	v_dual_add_f32 v120, v120, v124 :: v_dual_mul_f32 v65, 0x3eb8f4ab, v65
	s_delay_alu instid0(VALU_DEP_2) | instskip(SKIP_1) | instid1(VALU_DEP_1)
	v_fmamk_f32 v124, v67, 0xbe8c1d8e, v126
	v_fma_f32 v126, 0xbe8c1d8e, v67, -v126
	v_add_f32_e32 v125, v126, v128
	v_fma_f32 v127, 0x3ee437d1, v142, -v122
	v_mul_f32_e32 v128, 0x3eb8f4ab, v140
	v_fmac_f32_e32 v122, 0x3ee437d1, v142
	s_delay_alu instid0(VALU_DEP_1)
	v_add_f32_e32 v122, v122, v135
	v_dual_sub_f32 v135, v58, v64 :: v_dual_add_f32 v124, v124, v133
	v_fma_f32 v133, 0x3ee437d1, v67, -v141
	v_add_f32_e32 v58, v58, v64
	v_add_f32_e32 v126, v127, v137
	v_fma_f32 v137, 0x3f6eb680, v142, -v128
	v_fmamk_f32 v127, v67, 0x3ee437d1, v141
	v_dual_add_f32 v133, v133, v136 :: v_dual_fmac_f32 v128, 0x3f6eb680, v142
	s_delay_alu instid0(VALU_DEP_3)
	v_add_f32_e32 v136, v137, v139
	v_add_f32_e32 v137, v82, v63
	v_sub_f32_e32 v63, v82, v63
	v_dual_mul_f32 v82, 0xbf65296c, v135 :: v_dual_add_f32 v127, v127, v138
	v_fmamk_f32 v138, v67, 0x3f6eb680, v65
	v_fma_f32 v65, 0x3f6eb680, v67, -v65
	s_delay_alu instid0(VALU_DEP_4) | instskip(NEXT) | instid1(VALU_DEP_4)
	v_mul_f32_e32 v64, 0xbf65296c, v63
	v_fma_f32 v67, 0x3ee437d1, v137, -v82
	s_delay_alu instid0(VALU_DEP_4) | instskip(NEXT) | instid1(VALU_DEP_4)
	v_dual_add_f32 v55, v128, v55 :: v_dual_add_f32 v80, v138, v80
	v_add_f32_e32 v56, v65, v56
	s_delay_alu instid0(VALU_DEP_4)
	v_fmamk_f32 v128, v58, 0x3ee437d1, v64
	v_mul_f32_e32 v65, 0xbf4c4adb, v135
	v_add_f32_e32 v57, v67, v57
	v_fmac_f32_e32 v82, 0x3ee437d1, v137
	v_fma_f32 v64, 0x3ee437d1, v58, -v64
	v_add_f32_e32 v59, v128, v59
	v_mul_f32_e32 v128, 0xbf4c4adb, v63
	v_fma_f32 v67, 0xbf1a4643, v137, -v65
	s_delay_alu instid0(VALU_DEP_4) | instskip(NEXT) | instid1(VALU_DEP_3)
	v_dual_add_f32 v69, v82, v69 :: v_dual_add_f32 v64, v64, v70
	v_dual_fmac_f32 v65, 0xbf1a4643, v137 :: v_dual_fmamk_f32 v70, v58, 0xbf1a4643, v128
	v_fma_f32 v82, 0xbf1a4643, v58, -v128
	v_mul_f32_e32 v128, 0x3e3c28d5, v63
	v_dual_add_f32 v60, v67, v60 :: v_dual_mul_f32 v67, 0x3e3c28d5, v135
	s_delay_alu instid0(VALU_DEP_3) | instskip(NEXT) | instid1(VALU_DEP_3)
	v_dual_add_f32 v65, v65, v66 :: v_dual_add_f32 v66, v82, v68
	v_fmamk_f32 v68, v58, 0xbf7ba420, v128
	v_fma_f32 v82, 0xbf7ba420, v58, -v128
	s_delay_alu instid0(VALU_DEP_4) | instskip(SKIP_1) | instid1(VALU_DEP_4)
	v_fma_f32 v138, 0xbf7ba420, v137, -v67
	v_dual_fmac_f32 v67, 0xbf7ba420, v137 :: v_dual_add_f32 v70, v70, v71
	v_add_f32_e32 v68, v68, v74
	s_delay_alu instid0(VALU_DEP_3) | instskip(SKIP_1) | instid1(VALU_DEP_4)
	v_dual_mul_f32 v74, 0x3f763a35, v63 :: v_dual_add_f32 v71, v138, v73
	v_mul_f32_e32 v73, 0x3f763a35, v135
	v_add_f32_e32 v67, v67, v75
	v_add_f32_e32 v75, v82, v76
	s_delay_alu instid0(VALU_DEP_4) | instskip(SKIP_2) | instid1(VALU_DEP_3)
	v_fmamk_f32 v82, v58, 0xbe8c1d8e, v74
	v_fma_f32 v74, 0xbe8c1d8e, v58, -v74
	v_fma_f32 v128, 0xbe8c1d8e, v137, -v73
	v_dual_fmac_f32 v73, 0xbe8c1d8e, v137 :: v_dual_add_f32 v78, v82, v78
	s_delay_alu instid0(VALU_DEP_2) | instskip(NEXT) | instid1(VALU_DEP_2)
	v_dual_mul_f32 v76, 0x3f2c7751, v135 :: v_dual_add_f32 v77, v128, v77
	v_add_f32_e32 v72, v73, v72
	v_dual_mul_f32 v82, 0x3f2c7751, v63 :: v_dual_add_f32 v73, v74, v81
	s_delay_alu instid0(VALU_DEP_3) | instskip(SKIP_2) | instid1(VALU_DEP_3)
	v_fma_f32 v128, 0x3f3d2fb0, v137, -v76
	v_mul_f32_e32 v81, 0xbeb8f4ab, v135
	v_fmac_f32_e32 v76, 0x3f3d2fb0, v137
	v_dual_add_f32 v74, v128, v121 :: v_dual_fmamk_f32 v121, v58, 0x3f3d2fb0, v82
	v_fma_f32 v82, 0x3f3d2fb0, v58, -v82
	s_delay_alu instid0(VALU_DEP_4) | instskip(NEXT) | instid1(VALU_DEP_4)
	v_fma_f32 v138, 0x3f6eb680, v137, -v81
	v_dual_add_f32 v76, v76, v79 :: v_dual_fmac_f32 v81, 0x3f6eb680, v137
	s_delay_alu instid0(VALU_DEP_4) | instskip(NEXT) | instid1(VALU_DEP_4)
	v_add_f32_e32 v83, v121, v83
	v_add_f32_e32 v79, v82, v120
	s_delay_alu instid0(VALU_DEP_4) | instskip(SKIP_3) | instid1(VALU_DEP_3)
	v_add_f32_e32 v120, v138, v123
	v_mul_f32_e32 v128, 0xbeb8f4ab, v63
	v_add_f32_e32 v81, v81, v119
	v_mul_f32_e32 v121, 0xbf7ee86f, v135
	v_fma_f32 v123, 0x3f6eb680, v58, -v128
	s_delay_alu instid0(VALU_DEP_1) | instskip(SKIP_3) | instid1(VALU_DEP_2)
	v_add_f32_e32 v119, v123, v125
	v_mul_f32_e32 v123, 0xbf06c442, v135
	v_fmamk_f32 v82, v58, 0x3f6eb680, v128
	v_fma_f32 v128, 0x3dbcf732, v137, -v121
	v_dual_fmac_f32 v121, 0x3dbcf732, v137 :: v_dual_add_f32 v82, v82, v124
	v_mul_f32_e32 v124, 0xbf7ee86f, v63
	v_mul_f32_e32 v63, 0xbf06c442, v63
	s_delay_alu instid0(VALU_DEP_3) | instskip(NEXT) | instid1(VALU_DEP_3)
	v_add_f32_e32 v121, v121, v122
	v_fmamk_f32 v125, v58, 0x3dbcf732, v124
	v_fma_f32 v124, 0x3dbcf732, v58, -v124
	s_delay_alu instid0(VALU_DEP_2)
	v_add_f32_e32 v125, v125, v127
	v_sub_f32_e32 v127, v53, v62
	v_add_f32_e32 v126, v128, v126
	v_fma_f32 v128, 0xbf59a7d5, v137, -v123
	v_dual_add_f32 v53, v53, v62 :: v_dual_add_f32 v122, v124, v133
	v_sub_f32_e32 v133, v54, v61
	s_delay_alu instid0(VALU_DEP_3) | instskip(SKIP_3) | instid1(VALU_DEP_3)
	v_dual_fmac_f32 v123, 0xbf59a7d5, v137 :: v_dual_add_f32 v124, v128, v136
	v_fmamk_f32 v128, v58, 0xbf59a7d5, v63
	v_dual_add_f32 v54, v54, v61 :: v_dual_mul_f32 v61, 0xbf7ee86f, v127
	v_fma_f32 v58, 0xbf59a7d5, v58, -v63
	v_dual_mul_f32 v62, 0xbf7ee86f, v133 :: v_dual_add_f32 v63, v128, v80
	v_add_f32_e32 v55, v123, v55
	s_delay_alu instid0(VALU_DEP_4) | instskip(NEXT) | instid1(VALU_DEP_4)
	v_fma_f32 v80, 0x3dbcf732, v54, -v61
	v_add_f32_e32 v56, v58, v56
	s_delay_alu instid0(VALU_DEP_4) | instskip(SKIP_3) | instid1(VALU_DEP_4)
	v_fmamk_f32 v58, v53, 0x3dbcf732, v62
	v_mul_f32_e32 v123, 0xbe3c28d5, v127
	v_fma_f32 v62, 0x3dbcf732, v53, -v62
	v_add_f32_e32 v57, v80, v57
	v_dual_fmac_f32 v61, 0x3dbcf732, v54 :: v_dual_add_f32 v58, v58, v59
	s_delay_alu instid0(VALU_DEP_4) | instskip(SKIP_2) | instid1(VALU_DEP_4)
	v_fma_f32 v59, 0xbf7ba420, v54, -v123
	v_mul_f32_e32 v80, 0xbe3c28d5, v133
	v_add_f32_e32 v62, v62, v64
	v_dual_mul_f32 v64, 0x3f763a35, v127 :: v_dual_add_f32 v61, v61, v69
	s_delay_alu instid0(VALU_DEP_3) | instskip(SKIP_1) | instid1(VALU_DEP_3)
	v_dual_add_f32 v59, v59, v60 :: v_dual_fmamk_f32 v60, v53, 0xbf7ba420, v80
	v_fma_f32 v69, 0xbf7ba420, v53, -v80
	v_fma_f32 v80, 0xbe8c1d8e, v54, -v64
	v_mul_f32_e32 v128, 0x3f763a35, v133
	v_fmac_f32_e32 v123, 0xbf7ba420, v54
	v_add_f32_e32 v60, v60, v70
	s_delay_alu instid0(VALU_DEP_4) | instskip(NEXT) | instid1(VALU_DEP_4)
	v_dual_add_f32 v66, v69, v66 :: v_dual_add_f32 v69, v80, v71
	v_fmamk_f32 v70, v53, 0xbe8c1d8e, v128
	v_mul_f32_e32 v71, 0x3eb8f4ab, v127
	v_dual_add_f32 v65, v123, v65 :: v_dual_fmac_f32 v64, 0xbe8c1d8e, v54
	v_fma_f32 v80, 0xbe8c1d8e, v53, -v128
	s_delay_alu instid0(VALU_DEP_4) | instskip(NEXT) | instid1(VALU_DEP_4)
	v_dual_mul_f32 v123, 0x3eb8f4ab, v133 :: v_dual_add_f32 v68, v70, v68
	v_fma_f32 v70, 0x3f6eb680, v54, -v71
	s_delay_alu instid0(VALU_DEP_4) | instskip(NEXT) | instid1(VALU_DEP_4)
	v_add_f32_e32 v64, v64, v67
	v_add_f32_e32 v67, v80, v75
	s_delay_alu instid0(VALU_DEP_4) | instskip(NEXT) | instid1(VALU_DEP_4)
	v_fmamk_f32 v75, v53, 0x3f6eb680, v123
	v_dual_fmac_f32 v71, 0x3f6eb680, v54 :: v_dual_add_f32 v70, v70, v77
	v_fma_f32 v77, 0x3f6eb680, v53, -v123
	v_dual_mul_f32 v123, 0xbf65296c, v133 :: v_dual_mul_f32 v80, 0xbf65296c, v127
	s_delay_alu instid0(VALU_DEP_3) | instskip(NEXT) | instid1(VALU_DEP_3)
	v_add_f32_e32 v71, v71, v72
	v_dual_add_f32 v75, v75, v78 :: v_dual_add_f32 v72, v77, v73
	s_delay_alu instid0(VALU_DEP_3) | instskip(SKIP_1) | instid1(VALU_DEP_2)
	v_fmamk_f32 v77, v53, 0x3ee437d1, v123
	v_dual_mul_f32 v128, 0xbf06c442, v133 :: v_dual_mul_f32 v73, 0xbf06c442, v127
	v_add_f32_e32 v77, v77, v83
	v_mul_f32_e32 v83, 0x3f4c4adb, v127
	v_fma_f32 v78, 0x3ee437d1, v54, -v80
	v_fmac_f32_e32 v80, 0x3ee437d1, v54
	s_delay_alu instid0(VALU_DEP_1) | instskip(SKIP_1) | instid1(VALU_DEP_1)
	v_add_f32_e32 v76, v80, v76
	v_fmamk_f32 v80, v53, 0xbf59a7d5, v128
	v_add_f32_e32 v80, v80, v82
	v_fma_f32 v82, 0xbf1a4643, v54, -v83
	v_fmac_f32_e32 v83, 0xbf1a4643, v54
	s_delay_alu instid0(VALU_DEP_1)
	v_add_f32_e32 v83, v83, v121
	v_dual_sub_f32 v121, v49, v51 :: v_dual_add_f32 v74, v78, v74
	v_fma_f32 v78, 0x3ee437d1, v53, -v123
	v_fma_f32 v123, 0xbf59a7d5, v54, -v73
	v_fmac_f32_e32 v73, 0xbf59a7d5, v54
	v_add_f32_e32 v49, v49, v51
	s_delay_alu instid0(VALU_DEP_3) | instskip(SKIP_3) | instid1(VALU_DEP_3)
	v_dual_add_f32 v78, v78, v79 :: v_dual_add_f32 v79, v123, v120
	v_mul_f32_e32 v120, 0x3f4c4adb, v133
	v_fma_f32 v123, 0xbf59a7d5, v53, -v128
	v_add_f32_e32 v73, v73, v81
	v_fmamk_f32 v81, v53, 0xbf1a4643, v120
	s_delay_alu instid0(VALU_DEP_3) | instskip(SKIP_4) | instid1(VALU_DEP_4)
	v_add_f32_e32 v119, v123, v119
	v_mul_f32_e32 v123, 0x3f2c7751, v127
	v_fma_f32 v120, 0xbf1a4643, v53, -v120
	v_mul_f32_e32 v127, 0xbf763a35, v121
	v_add_f32_e32 v81, v81, v125
	v_fma_f32 v125, 0x3f3d2fb0, v54, -v123
	v_fmac_f32_e32 v123, 0x3f3d2fb0, v54
	v_add_f32_e32 v120, v120, v122
	s_delay_alu instid0(VALU_DEP_3) | instskip(SKIP_1) | instid1(VALU_DEP_4)
	v_add_f32_e32 v122, v125, v124
	v_add_f32_e32 v125, v50, v52
	v_dual_sub_f32 v50, v50, v52 :: v_dual_add_f32 v55, v123, v55
	v_dual_mul_f32 v123, 0x3f2c7751, v121 :: v_dual_add_f32 v82, v82, v126
	v_mul_f32_e32 v126, 0x3f2c7751, v133
	s_delay_alu instid0(VALU_DEP_4) | instskip(SKIP_2) | instid1(VALU_DEP_4)
	v_fma_f32 v51, 0xbe8c1d8e, v125, -v127
	v_fmac_f32_e32 v127, 0xbe8c1d8e, v125
	v_add_lshl_u32 v133, v2, v3, 3
	v_fmamk_f32 v124, v53, 0x3f3d2fb0, v126
	v_fma_f32 v52, 0x3f3d2fb0, v53, -v126
	v_mul_f32_e32 v53, 0xbf763a35, v50
	v_add_f32_e32 v51, v51, v57
	s_delay_alu instid0(VALU_DEP_4) | instskip(NEXT) | instid1(VALU_DEP_4)
	v_dual_mul_f32 v57, 0x3f06c442, v121 :: v_dual_add_f32 v54, v124, v63
	v_add_f32_e32 v52, v52, v56
	s_delay_alu instid0(VALU_DEP_4) | instskip(SKIP_2) | instid1(VALU_DEP_3)
	v_fmamk_f32 v56, v49, 0xbe8c1d8e, v53
	v_fma_f32 v53, 0xbe8c1d8e, v49, -v53
	v_mul_f32_e32 v63, 0x3f06c442, v50
	v_dual_add_f32 v61, v127, v61 :: v_dual_add_f32 v56, v56, v58
	v_fma_f32 v58, 0xbf59a7d5, v125, -v57
	s_delay_alu instid0(VALU_DEP_4) | instskip(NEXT) | instid1(VALU_DEP_4)
	v_add_f32_e32 v53, v53, v62
	v_fmamk_f32 v62, v49, 0xbf59a7d5, v63
	s_delay_alu instid0(VALU_DEP_1) | instskip(SKIP_1) | instid1(VALU_DEP_2)
	v_dual_fmac_f32 v57, 0xbf59a7d5, v125 :: v_dual_add_f32 v60, v62, v60
	v_fma_f32 v62, 0x3f3d2fb0, v125, -v123
	v_add_f32_e32 v57, v57, v65
	v_mul_f32_e32 v65, 0xbf65296c, v121
	v_fmac_f32_e32 v123, 0x3f3d2fb0, v125
	s_delay_alu instid0(VALU_DEP_4) | instskip(NEXT) | instid1(VALU_DEP_3)
	v_add_f32_e32 v62, v62, v69
	v_fma_f32 v69, 0x3ee437d1, v125, -v65
	s_delay_alu instid0(VALU_DEP_3) | instskip(NEXT) | instid1(VALU_DEP_1)
	v_dual_fmac_f32 v65, 0x3ee437d1, v125 :: v_dual_add_f32 v64, v123, v64
	v_add_f32_e32 v65, v65, v71
	v_add_f32_e32 v58, v58, v59
	v_fma_f32 v59, 0xbf59a7d5, v49, -v63
	v_mul_f32_e32 v63, 0x3f2c7751, v50
	v_mul_f32_e32 v123, 0xbe3c28d5, v50
	s_delay_alu instid0(VALU_DEP_2) | instskip(SKIP_1) | instid1(VALU_DEP_2)
	v_dual_add_f32 v59, v59, v66 :: v_dual_fmamk_f32 v66, v49, 0x3f3d2fb0, v63
	v_fma_f32 v63, 0x3f3d2fb0, v49, -v63
	v_dual_fmamk_f32 v71, v49, 0xbf7ba420, v123 :: v_dual_add_f32 v66, v66, v68
	s_delay_alu instid0(VALU_DEP_2) | instskip(SKIP_2) | instid1(VALU_DEP_4)
	v_add_f32_e32 v63, v63, v67
	v_add_f32_e32 v67, v69, v70
	v_mul_f32_e32 v69, 0xbe3c28d5, v121
	v_dual_mul_f32 v124, 0xbf65296c, v50 :: v_dual_add_f32 v71, v71, v77
	s_delay_alu instid0(VALU_DEP_1) | instskip(SKIP_2) | instid1(VALU_DEP_3)
	v_fmamk_f32 v68, v49, 0x3ee437d1, v124
	v_fma_f32 v70, 0x3ee437d1, v49, -v124
	v_mul_f32_e32 v124, 0xbeb8f4ab, v50
	v_add_f32_e32 v68, v68, v75
	v_fma_f32 v75, 0xbf7ba420, v125, -v69
	s_delay_alu instid0(VALU_DEP_4) | instskip(SKIP_1) | instid1(VALU_DEP_3)
	v_add_f32_e32 v70, v70, v72
	v_mul_f32_e32 v72, 0x3f7ee86f, v121
	v_dual_fmac_f32 v69, 0xbf7ba420, v125 :: v_dual_add_f32 v74, v75, v74
	v_fma_f32 v75, 0xbf7ba420, v49, -v123
	s_delay_alu instid0(VALU_DEP_3) | instskip(SKIP_1) | instid1(VALU_DEP_4)
	v_fma_f32 v77, 0x3dbcf732, v125, -v72
	v_mul_f32_e32 v123, 0x3f7ee86f, v50
	v_dual_add_f32 v69, v69, v76 :: v_dual_mul_f32 v76, 0xbeb8f4ab, v121
	s_delay_alu instid0(VALU_DEP_3) | instskip(NEXT) | instid1(VALU_DEP_3)
	v_dual_fmac_f32 v72, 0x3dbcf732, v125 :: v_dual_add_f32 v77, v77, v79
	v_fma_f32 v79, 0x3dbcf732, v49, -v123
	v_dual_add_f32 v75, v75, v78 :: v_dual_fmamk_f32 v78, v49, 0x3dbcf732, v123
	s_delay_alu instid0(VALU_DEP_4) | instskip(NEXT) | instid1(VALU_DEP_3)
	v_fma_f32 v123, 0x3f6eb680, v125, -v76
	v_dual_add_f32 v72, v72, v73 :: v_dual_add_f32 v73, v79, v119
	v_fmac_f32_e32 v76, 0x3f6eb680, v125
	v_fma_f32 v119, 0x3f6eb680, v49, -v124
	s_delay_alu instid0(VALU_DEP_4) | instskip(SKIP_1) | instid1(VALU_DEP_3)
	v_dual_add_f32 v79, v123, v82 :: v_dual_mul_f32 v82, 0xbf4c4adb, v121
	v_mul_f32_e32 v50, 0xbf4c4adb, v50
	v_dual_add_f32 v76, v76, v83 :: v_dual_add_f32 v83, v119, v120
	v_dual_sub_f32 v119, v45, v47 :: v_dual_add_f32 v120, v46, v48
	v_sub_f32_e32 v46, v46, v48
	v_add_f32_e32 v78, v78, v80
	v_fmamk_f32 v80, v49, 0x3f6eb680, v124
	v_fmamk_f32 v121, v49, 0xbf1a4643, v50
	v_fma_f32 v49, 0xbf1a4643, v49, -v50
	v_add_f32_e32 v45, v45, v47
	s_delay_alu instid0(VALU_DEP_4)
	v_dual_mul_f32 v47, 0xbf4c4adb, v46 :: v_dual_add_f32 v80, v80, v81
	v_fma_f32 v81, 0xbf1a4643, v125, -v82
	v_mul_f32_e32 v48, 0xbf4c4adb, v119
	v_dual_fmac_f32 v82, 0xbf1a4643, v125 :: v_dual_add_f32 v49, v49, v52
	v_mul_f32_e32 v52, 0x3f763a35, v119
	v_add_f32_e32 v54, v121, v54
	s_delay_alu instid0(VALU_DEP_4) | instskip(NEXT) | instid1(VALU_DEP_4)
	v_fma_f32 v50, 0xbf1a4643, v120, -v48
	v_dual_add_f32 v55, v82, v55 :: v_dual_fmamk_f32 v82, v45, 0xbf1a4643, v47
	v_fma_f32 v47, 0xbf1a4643, v45, -v47
	v_fmac_f32_e32 v48, 0xbf1a4643, v120
	s_delay_alu instid0(VALU_DEP_4) | instskip(SKIP_4) | instid1(VALU_DEP_2)
	v_add_f32_e32 v50, v50, v51
	v_fma_f32 v51, 0xbe8c1d8e, v120, -v52
	v_add_f32_e32 v56, v82, v56
	v_dual_mul_f32 v82, 0x3f763a35, v46 :: v_dual_add_f32 v47, v47, v53
	v_dual_mul_f32 v53, 0xbeb8f4ab, v119 :: v_dual_add_f32 v48, v48, v61
	v_dual_add_f32 v51, v51, v58 :: v_dual_fmamk_f32 v58, v45, 0xbe8c1d8e, v82
	v_fmac_f32_e32 v52, 0xbe8c1d8e, v120
	v_fma_f32 v61, 0xbe8c1d8e, v45, -v82
	v_mul_f32_e32 v82, 0xbeb8f4ab, v46
	v_fma_f32 v121, 0x3f6eb680, v120, -v53
	v_add_f32_e32 v58, v58, v60
	s_delay_alu instid0(VALU_DEP_4) | instskip(NEXT) | instid1(VALU_DEP_3)
	v_dual_add_f32 v52, v52, v57 :: v_dual_add_f32 v57, v61, v59
	v_dual_mul_f32 v61, 0xbf06c442, v119 :: v_dual_add_f32 v60, v121, v62
	v_fma_f32 v62, 0x3f6eb680, v45, -v82
	v_fmamk_f32 v59, v45, 0x3f6eb680, v82
	v_add_f32_e32 v81, v81, v122
	s_delay_alu instid0(VALU_DEP_4) | instskip(NEXT) | instid1(VALU_DEP_4)
	v_fma_f32 v82, 0xbf59a7d5, v120, -v61
	v_dual_fmac_f32 v61, 0xbf59a7d5, v120 :: v_dual_add_f32 v62, v62, v63
	v_mul_f32_e32 v63, 0x3f7ee86f, v119
	v_add_f32_e32 v59, v59, v66
	s_delay_alu instid0(VALU_DEP_4) | instskip(NEXT) | instid1(VALU_DEP_4)
	v_add_f32_e32 v67, v82, v67
	v_add_f32_e32 v61, v61, v65
	v_fmac_f32_e32 v53, 0x3f6eb680, v120
	v_fma_f32 v82, 0x3dbcf732, v120, -v63
	v_fmac_f32_e32 v63, 0x3dbcf732, v120
	v_add_co_u32 v123, s0, s8, v129
	s_delay_alu instid0(VALU_DEP_4) | instskip(SKIP_3) | instid1(VALU_DEP_1)
	v_add_f32_e32 v53, v53, v64
	s_wait_alu 0xf1ff
	v_add_co_ci_u32_e64 v124, null, s9, 0, s0
	v_dual_add_f32 v63, v63, v69 :: v_dual_mul_f32 v66, 0xbf06c442, v46
                                        ; implicit-def: $vgpr125
	v_fmamk_f32 v64, v45, 0xbf59a7d5, v66
	v_fma_f32 v66, 0xbf59a7d5, v45, -v66
	s_delay_alu instid0(VALU_DEP_2) | instskip(SKIP_1) | instid1(VALU_DEP_3)
	v_add_f32_e32 v64, v64, v68
	v_mul_f32_e32 v68, 0x3f7ee86f, v46
	v_add_f32_e32 v65, v66, v70
	v_add_f32_e32 v66, v82, v74
	v_mul_f32_e32 v70, 0xbf2c7751, v119
	v_mul_f32_e32 v82, 0xbf2c7751, v46
	v_fmamk_f32 v74, v45, 0x3dbcf732, v68
	v_fma_f32 v68, 0x3dbcf732, v45, -v68
	s_delay_alu instid0(VALU_DEP_4) | instskip(NEXT) | instid1(VALU_DEP_4)
	v_fma_f32 v121, 0x3f3d2fb0, v120, -v70
	v_fmamk_f32 v69, v45, 0x3f3d2fb0, v82
	s_delay_alu instid0(VALU_DEP_4) | instskip(NEXT) | instid1(VALU_DEP_3)
	v_dual_add_f32 v71, v74, v71 :: v_dual_fmac_f32 v70, 0x3f3d2fb0, v120
	v_add_f32_e32 v74, v121, v77
	v_fma_f32 v77, 0x3f3d2fb0, v45, -v82
	s_delay_alu instid0(VALU_DEP_4) | instskip(SKIP_2) | instid1(VALU_DEP_4)
	v_add_f32_e32 v69, v69, v78
	v_mul_f32_e32 v78, 0xbe3c28d5, v46
	v_add_f32_e32 v70, v70, v72
	v_dual_add_f32 v72, v77, v73 :: v_dual_mul_f32 v73, 0x3f65296c, v119
	s_delay_alu instid0(VALU_DEP_3) | instskip(SKIP_1) | instid1(VALU_DEP_2)
	v_fmamk_f32 v77, v45, 0xbf7ba420, v78
	v_fma_f32 v78, 0xbf7ba420, v45, -v78
	v_add_f32_e32 v77, v77, v80
	v_sub_f32_e32 v80, v41, v43
	v_add_f32_e32 v41, v41, v43
	v_add_f32_e32 v68, v68, v75
	v_mul_f32_e32 v75, 0xbe3c28d5, v119
	v_mul_f32_e32 v46, 0x3f65296c, v46
	s_delay_alu instid0(VALU_DEP_2) | instskip(SKIP_1) | instid1(VALU_DEP_2)
	v_fma_f32 v82, 0xbf7ba420, v120, -v75
	v_fmac_f32_e32 v75, 0xbf7ba420, v120
	v_add_f32_e32 v79, v82, v79
	v_fma_f32 v82, 0x3ee437d1, v120, -v73
	v_fmac_f32_e32 v73, 0x3ee437d1, v120
	s_delay_alu instid0(VALU_DEP_4) | instskip(NEXT) | instid1(VALU_DEP_2)
	v_add_f32_e32 v75, v75, v76
	v_add_f32_e32 v55, v73, v55
	v_dual_mul_f32 v73, 0x3f65296c, v80 :: v_dual_add_f32 v76, v78, v83
	v_add_f32_e32 v78, v82, v81
	v_dual_sub_f32 v82, v42, v44 :: v_dual_fmamk_f32 v81, v45, 0x3ee437d1, v46
	v_add_f32_e32 v42, v42, v44
	v_mul_f32_e32 v44, 0xbf06c442, v80
	v_fma_f32 v45, 0x3ee437d1, v45, -v46
	s_delay_alu instid0(VALU_DEP_4)
	v_mul_f32_e32 v43, 0xbf06c442, v82
	v_add_f32_e32 v46, v81, v54
	v_mul_f32_e32 v81, 0xbf7ee86f, v82
	v_fma_f32 v54, 0xbf59a7d5, v42, -v44
	v_add_f32_e32 v45, v45, v49
	v_dual_fmamk_f32 v49, v41, 0xbf59a7d5, v43 :: v_dual_fmac_f32 v44, 0xbf59a7d5, v42
	v_fma_f32 v43, 0xbf59a7d5, v41, -v43
	s_delay_alu instid0(VALU_DEP_4) | instskip(SKIP_1) | instid1(VALU_DEP_4)
	v_add_f32_e32 v50, v54, v50
	v_fma_f32 v54, 0x3ee437d1, v42, -v73
	v_dual_add_f32 v49, v49, v56 :: v_dual_mul_f32 v56, 0x3f65296c, v82
	v_dual_add_f32 v44, v44, v48 :: v_dual_fmac_f32 v73, 0x3ee437d1, v42
	s_delay_alu instid0(VALU_DEP_3) | instskip(SKIP_1) | instid1(VALU_DEP_4)
	v_add_f32_e32 v48, v54, v51
	v_add_f32_e32 v43, v43, v47
	v_fma_f32 v54, 0x3ee437d1, v41, -v56
	v_fmamk_f32 v51, v41, 0x3ee437d1, v56
	v_add_f32_e32 v52, v73, v52
	s_delay_alu instid0(VALU_DEP_3) | instskip(SKIP_3) | instid1(VALU_DEP_4)
	v_dual_add_f32 v54, v54, v57 :: v_dual_fmamk_f32 v57, v41, 0x3dbcf732, v81
	v_mul_f32_e32 v73, 0x3f4c4adb, v82
	v_mul_f32_e32 v47, 0xbf7ee86f, v80
	v_dual_add_f32 v51, v51, v58 :: v_dual_mul_f32 v58, 0x3f4c4adb, v80
	v_add_f32_e32 v57, v57, v59
	s_delay_alu instid0(VALU_DEP_3) | instskip(SKIP_1) | instid1(VALU_DEP_4)
	v_fma_f32 v56, 0x3dbcf732, v42, -v47
	v_fmac_f32_e32 v47, 0x3dbcf732, v42
	v_fma_f32 v59, 0xbf1a4643, v42, -v58
	s_delay_alu instid0(VALU_DEP_3) | instskip(SKIP_1) | instid1(VALU_DEP_4)
	v_add_f32_e32 v56, v56, v60
	v_fma_f32 v60, 0x3dbcf732, v41, -v81
	v_add_f32_e32 v47, v47, v53
	s_delay_alu instid0(VALU_DEP_4)
	v_add_f32_e32 v59, v59, v67
	v_fma_f32 v67, 0xbf1a4643, v41, -v73
	v_mul_f32_e32 v81, 0xbe3c28d5, v82
	v_dual_add_f32 v53, v60, v62 :: v_dual_fmamk_f32 v60, v41, 0xbf1a4643, v73
	v_dual_mul_f32 v62, 0xbeb8f4ab, v80 :: v_dual_mul_f32 v73, 0xbeb8f4ab, v82
	v_fmac_f32_e32 v58, 0xbf1a4643, v42
	s_delay_alu instid0(VALU_DEP_3) | instskip(NEXT) | instid1(VALU_DEP_3)
	v_add_f32_e32 v60, v60, v64
	v_fma_f32 v64, 0x3f6eb680, v42, -v62
	s_delay_alu instid0(VALU_DEP_3) | instskip(SKIP_1) | instid1(VALU_DEP_3)
	v_add_f32_e32 v58, v58, v61
	v_add_f32_e32 v61, v67, v65
	v_dual_mul_f32 v65, 0xbe3c28d5, v80 :: v_dual_add_f32 v64, v64, v66
	v_fmamk_f32 v66, v41, 0x3f6eb680, v73
	v_fma_f32 v67, 0x3f6eb680, v41, -v73
	s_delay_alu instid0(VALU_DEP_3) | instskip(SKIP_2) | instid1(VALU_DEP_1)
	v_fma_f32 v73, 0xbf7ba420, v42, -v65
	v_fmac_f32_e32 v65, 0xbf7ba420, v42
	v_fmac_f32_e32 v62, 0x3f6eb680, v42
	v_dual_add_f32 v65, v65, v70 :: v_dual_add_f32 v62, v62, v63
	v_add_f32_e32 v63, v67, v68
	v_add_f32_e32 v67, v73, v74
	v_fma_f32 v73, 0xbf7ba420, v41, -v81
	v_fmamk_f32 v68, v41, 0xbf7ba420, v81
	s_delay_alu instid0(VALU_DEP_2) | instskip(SKIP_1) | instid1(VALU_DEP_3)
	v_add_f32_e32 v70, v73, v72
	v_dual_mul_f32 v73, 0xbf763a35, v80 :: v_dual_add_f32 v66, v66, v71
	v_dual_mul_f32 v71, 0x3f2c7751, v80 :: v_dual_add_f32 v68, v68, v69
	v_sub_f32_e32 v80, v38, v40
	s_delay_alu instid0(VALU_DEP_2) | instskip(SKIP_1) | instid1(VALU_DEP_2)
	v_fma_f32 v69, 0x3f3d2fb0, v42, -v71
	v_fmac_f32_e32 v71, 0x3f3d2fb0, v42
	v_dual_mul_f32 v74, 0x3f2c7751, v82 :: v_dual_add_f32 v69, v69, v79
	v_mul_f32_e32 v79, 0xbf763a35, v82
	s_delay_alu instid0(VALU_DEP_2) | instskip(SKIP_2) | instid1(VALU_DEP_3)
	v_fmamk_f32 v72, v41, 0x3f3d2fb0, v74
	v_fma_f32 v74, 0x3f3d2fb0, v41, -v74
	v_add_f32_e32 v71, v71, v75
	v_dual_sub_f32 v75, v37, v39 :: v_dual_add_f32 v72, v72, v77
	v_fma_f32 v77, 0xbe8c1d8e, v42, -v73
	s_delay_alu instid0(VALU_DEP_4) | instskip(NEXT) | instid1(VALU_DEP_2)
	v_dual_add_f32 v74, v74, v76 :: v_dual_fmac_f32 v73, 0xbe8c1d8e, v42
	v_add_f32_e32 v76, v77, v78
	v_fmamk_f32 v77, v41, 0xbe8c1d8e, v79
	s_delay_alu instid0(VALU_DEP_3) | instskip(SKIP_1) | instid1(VALU_DEP_3)
	v_add_f32_e32 v73, v73, v55
	v_mul_f32_e32 v55, 0x3f65296c, v75
	v_dual_add_f32 v77, v77, v46 :: v_dual_mul_f32 v46, 0x3f2c7751, v80
	v_add_f32_e32 v78, v38, v40
	v_fma_f32 v38, 0xbe8c1d8e, v41, -v79
	v_add_f32_e32 v79, v37, v39
	v_dual_mul_f32 v39, 0xbe3c28d5, v80 :: v_dual_mul_f32 v40, 0xbe3c28d5, v75
	v_mul_f32_e32 v41, 0x3eb8f4ab, v75
	s_delay_alu instid0(VALU_DEP_2) | instskip(SKIP_1) | instid1(VALU_DEP_4)
	v_dual_add_f32 v81, v38, v45 :: v_dual_fmamk_f32 v38, v79, 0xbf7ba420, v39
	v_fma_f32 v39, 0xbf7ba420, v79, -v39
	v_fma_f32 v37, 0xbf7ba420, v78, -v40
	v_fmac_f32_e32 v40, 0xbf7ba420, v78
	s_delay_alu instid0(VALU_DEP_3) | instskip(SKIP_1) | instid1(VALU_DEP_3)
	v_add_f32_e32 v120, v39, v43
	v_mul_f32_e32 v43, 0xbf06c442, v75
	v_add_f32_e32 v119, v40, v44
	v_add_f32_e32 v37, v37, v50
	s_delay_alu instid0(VALU_DEP_3) | instskip(SKIP_2) | instid1(VALU_DEP_2)
	v_fma_f32 v44, 0xbf59a7d5, v78, -v43
	v_fmac_f32_e32 v43, 0xbf59a7d5, v78
	v_mul_f32_e32 v42, 0x3eb8f4ab, v80
	v_dual_mul_f32 v50, 0xbf4c4adb, v80 :: v_dual_add_f32 v43, v43, v47
	v_fmamk_f32 v47, v79, 0x3f3d2fb0, v46
	v_fma_f32 v45, 0x3f6eb680, v78, -v41
	s_delay_alu instid0(VALU_DEP_4) | instskip(SKIP_1) | instid1(VALU_DEP_3)
	v_dual_fmamk_f32 v40, v79, 0x3f6eb680, v42 :: v_dual_fmac_f32 v41, 0x3f6eb680, v78
	v_fma_f32 v42, 0x3f6eb680, v79, -v42
	v_add_f32_e32 v39, v45, v48
	v_mul_f32_e32 v45, 0xbf06c442, v80
	s_delay_alu instid0(VALU_DEP_3) | instskip(SKIP_2) | instid1(VALU_DEP_4)
	v_dual_add_f32 v121, v41, v52 :: v_dual_add_f32 v122, v42, v54
	v_add_f32_e32 v41, v44, v56
	v_fma_f32 v54, 0x3ee437d1, v78, -v55
	v_fma_f32 v44, 0xbf59a7d5, v79, -v45
	v_fmac_f32_e32 v55, 0x3ee437d1, v78
	v_mul_f32_e32 v48, 0x3f2c7751, v75
	v_fmamk_f32 v42, v79, 0xbf59a7d5, v45
	v_add_f32_e32 v40, v40, v51
	v_add_f32_e32 v44, v44, v53
	;; [unrolled: 1-line block ×3, first 2 shown]
	v_fma_f32 v45, 0x3f3d2fb0, v78, -v48
	v_dual_add_f32 v42, v42, v57 :: v_dual_mul_f32 v51, 0xbf4c4adb, v75
	v_fmac_f32_e32 v48, 0x3f3d2fb0, v78
	s_delay_alu instid0(VALU_DEP_3) | instskip(SKIP_1) | instid1(VALU_DEP_4)
	v_dual_mul_f32 v56, 0x3f65296c, v80 :: v_dual_add_f32 v45, v45, v59
	v_dual_mul_f32 v59, 0xbf763a35, v75 :: v_dual_add_f32 v38, v38, v49
	v_fma_f32 v52, 0xbf1a4643, v78, -v51
	v_fmac_f32_e32 v51, 0xbf1a4643, v78
	s_delay_alu instid0(VALU_DEP_3) | instskip(SKIP_1) | instid1(VALU_DEP_3)
	v_fma_f32 v57, 0xbe8c1d8e, v78, -v59
	v_fmac_f32_e32 v59, 0xbe8c1d8e, v78
	v_dual_add_f32 v51, v51, v62 :: v_dual_mul_f32 v62, 0x3f7ee86f, v80
	s_delay_alu instid0(VALU_DEP_3) | instskip(NEXT) | instid1(VALU_DEP_3)
	v_add_f32_e32 v57, v57, v69
	v_add_f32_e32 v59, v59, v71
	v_fma_f32 v49, 0x3f3d2fb0, v79, -v46
	v_dual_add_f32 v46, v47, v60 :: v_dual_add_f32 v47, v48, v58
	v_mul_f32_e32 v58, 0xbf763a35, v80
	v_fma_f32 v65, 0x3dbcf732, v79, -v62
	s_delay_alu instid0(VALU_DEP_4) | instskip(SKIP_1) | instid1(VALU_DEP_4)
	v_dual_add_f32 v48, v49, v61 :: v_dual_add_f32 v49, v52, v64
	v_fma_f32 v52, 0xbf1a4643, v79, -v50
	v_fmamk_f32 v60, v79, 0xbe8c1d8e, v58
	v_fma_f32 v61, 0xbe8c1d8e, v79, -v58
	v_fmamk_f32 v64, v79, 0x3dbcf732, v62
	s_delay_alu instid0(VALU_DEP_4) | instskip(NEXT) | instid1(VALU_DEP_4)
	v_add_f32_e32 v52, v52, v63
	v_dual_mul_f32 v63, 0x3f7ee86f, v75 :: v_dual_add_f32 v58, v60, v72
	s_delay_alu instid0(VALU_DEP_4) | instskip(NEXT) | instid1(VALU_DEP_4)
	v_add_f32_e32 v60, v61, v74
	v_add_f32_e32 v62, v64, v77
	;; [unrolled: 1-line block ×3, first 2 shown]
	s_delay_alu instid0(VALU_DEP_4) | instskip(SKIP_1) | instid1(VALU_DEP_2)
	v_fma_f32 v61, 0x3dbcf732, v78, -v63
	v_fmac_f32_e32 v63, 0x3dbcf732, v78
	v_add_f32_e32 v61, v61, v76
	s_delay_alu instid0(VALU_DEP_2) | instskip(SKIP_1) | instid1(VALU_DEP_1)
	v_add_f32_e32 v63, v63, v73
	v_fmamk_f32 v53, v79, 0xbf1a4643, v50
	v_dual_add_f32 v50, v53, v66 :: v_dual_add_f32 v53, v54, v67
	v_fmamk_f32 v54, v79, 0x3ee437d1, v56
	v_fma_f32 v56, 0x3ee437d1, v79, -v56
	s_delay_alu instid0(VALU_DEP_2) | instskip(NEXT) | instid1(VALU_DEP_2)
	v_add_f32_e32 v54, v54, v68
	v_add_f32_e32 v56, v56, v70
	ds_store_2addr_b64 v133, v[0:1], v[37:38] offset1:17
	ds_store_2addr_b64 v133, v[39:40], v[41:42] offset0:34 offset1:51
	ds_store_2addr_b64 v133, v[45:46], v[49:50] offset0:68 offset1:85
	;; [unrolled: 1-line block ×7, first 2 shown]
	ds_store_b64 v133, v[119:120] offset:2176
	v_add_nc_u32_e32 v0, 0x400, v129
	global_wb scope:SCOPE_SE
	s_wait_dscnt 0x0
	s_barrier_signal -1
	s_barrier_wait -1
	global_inv scope:SCOPE_SE
	ds_load_2addr_b64 v[60:63], v129 offset1:51
	ds_load_2addr_b64 v[56:59], v0 offset0:76 offset1:161
	ds_load_2addr_b64 v[68:71], v132 offset0:66 offset1:117
	;; [unrolled: 1-line block ×6, first 2 shown]
	ds_load_b64 v[127:128], v129 offset:6256
	s_and_saveexec_b32 s0, vcc_lo
	s_cbranch_execz .LBB0_3
; %bb.2:
	ds_load_b64 v[121:122], v129 offset:2040
	ds_load_b64 v[119:120], v129 offset:4352
	;; [unrolled: 1-line block ×3, first 2 shown]
.LBB0_3:
	s_wait_alu 0xfffe
	s_or_b32 exec_lo, exec_lo, s0
	v_lshlrev_b32_e32 v0, 4, v130
	global_load_b128 v[40:43], v0, s[10:11] offset:2176
	v_add_nc_u32_e32 v1, 0x330, v0
	global_load_b128 v[52:55], v1, s[10:11] offset:2176
	v_add_nc_u32_e32 v2, 0x660, v0
	v_add_nc_u32_e32 v1, 0x990, v0
	s_wait_loadcnt_dscnt 0x105
	v_dual_mul_f32 v137, v69, v43 :: v_dual_add_nc_u32 v0, 0xcc0, v0
	v_mul_f32_e32 v135, v59, v41
	global_load_b128 v[48:51], v2, s[10:11] offset:2176
	v_mul_f32_e32 v138, v68, v43
	s_clause 0x1
	global_load_b128 v[44:47], v1, s[10:11] offset:2176
	global_load_b128 v[36:39], v0, s[10:11] offset:2176
	v_add_co_u32 v0, s0, 0xff, v130
	s_wait_alu 0xf1ff
	v_add_co_ci_u32_e64 v1, null, 0, 0, s0
	v_add_co_u32 v2, s0, 0xffffffde, v130
	s_wait_alu 0xf1ff
	v_add_co_ci_u32_e64 v3, null, 0, -1, s0
	v_mul_f32_e32 v136, v58, v41
	s_delay_alu instid0(VALU_DEP_3)
	v_cndmask_b32_e32 v0, v2, v0, vcc_lo
	v_fma_f32 v58, v58, v40, -v135
	s_wait_loadcnt_dscnt 0x304
	v_mul_f32_e32 v135, v72, v53
	v_cndmask_b32_e32 v1, v3, v1, vcc_lo
	v_fmac_f32_e32 v136, v59, v40
	v_fma_f32 v59, v68, v42, -v137
	v_dual_mul_f32 v137, v70, v55 :: v_dual_fmac_f32 v138, v69, v42
	v_mul_f32_e32 v69, v71, v55
	v_lshlrev_b64_e32 v[0:1], 4, v[0:1]
	v_mul_f32_e32 v68, v73, v53
	v_fmac_f32_e32 v135, v73, v52
	s_delay_alu instid0(VALU_DEP_4)
	v_fma_f32 v151, v70, v54, -v69
	v_add_f32_e32 v69, v58, v59
	v_add_co_u32 v0, s0, s10, v0
	s_wait_alu 0xf1ff
	v_add_co_ci_u32_e64 v1, s0, s11, v1, s0
	global_load_b128 v[0:3], v[0:1], off offset:2176
	s_wait_loadcnt_dscnt 0x302
	v_dual_mul_f32 v139, v75, v49 :: v_dual_mul_f32 v142, v76, v51
	v_dual_mul_f32 v140, v74, v49 :: v_dual_mul_f32 v141, v77, v51
	s_wait_loadcnt_dscnt 0x201
	v_dual_mul_f32 v143, v81, v45 :: v_dual_mul_f32 v146, v78, v47
	v_dual_mul_f32 v144, v80, v45 :: v_dual_mul_f32 v145, v79, v47
	s_wait_loadcnt 0x1
	v_dual_mul_f32 v147, v83, v37 :: v_dual_fmac_f32 v142, v77, v50
	s_wait_dscnt 0x0
	v_dual_mul_f32 v148, v82, v37 :: v_dual_mul_f32 v149, v128, v39
	v_dual_mul_f32 v150, v127, v39 :: v_dual_sub_f32 v77, v136, v138
	v_fma_f32 v72, v72, v52, -v68
	v_dual_fmac_f32 v137, v71, v54 :: v_dual_fmac_f32 v144, v81, v44
	v_fma_f32 v73, v74, v48, -v139
	v_fmac_f32_e32 v140, v75, v48
	v_fma_f32 v76, v76, v50, -v141
	v_fma_f32 v74, v80, v44, -v143
	;; [unrolled: 1-line block ×4, first 2 shown]
	v_fmac_f32_e32 v148, v83, v36
	v_fma_f32 v82, v127, v38, -v149
	v_dual_fmac_f32 v150, v128, v38 :: v_dual_sub_f32 v127, v135, v137
	v_dual_add_f32 v68, v60, v58 :: v_dual_add_f32 v81, v135, v137
	v_add_f32_e32 v78, v136, v138
	v_dual_fmac_f32 v146, v79, v46 :: v_dual_add_f32 v71, v61, v136
	v_sub_f32_e32 v79, v58, v59
	s_delay_alu instid0(VALU_DEP_4)
	v_add_f32_e32 v70, v68, v59
	v_fma_f32 v68, -0.5, v69, v60
	v_fma_f32 v69, -0.5, v78, v61
	v_dual_add_f32 v71, v71, v138 :: v_dual_add_f32 v60, v62, v72
	v_add_f32_e32 v61, v72, v151
	v_dual_sub_f32 v136, v140, v142 :: v_dual_add_f32 v143, v74, v80
	s_wait_loadcnt 0x0
	v_dual_add_f32 v153, v75, v82 :: v_dual_mul_f32 v158, v126, v3
	v_dual_sub_f32 v154, v148, v150 :: v_dual_add_f32 v155, v57, v148
	v_dual_add_f32 v148, v148, v150 :: v_dual_mul_f32 v59, v119, v1
	v_dual_sub_f32 v156, v75, v82 :: v_dual_mul_f32 v157, v120, v1
	v_mul_f32_e32 v58, v125, v3
	v_dual_add_f32 v78, v63, v135 :: v_dual_add_f32 v83, v64, v73
	v_dual_sub_f32 v128, v72, v151 :: v_dual_add_f32 v141, v66, v74
	v_add_f32_e32 v135, v73, v76
	v_dual_add_f32 v138, v65, v140 :: v_dual_add_f32 v139, v140, v142
	v_dual_sub_f32 v140, v73, v76 :: v_dual_sub_f32 v145, v144, v146
	v_dual_sub_f32 v149, v74, v80 :: v_dual_add_f32 v152, v56, v75
	v_dual_fmamk_f32 v73, v79, 0xbf5db3d7, v69 :: v_dual_add_f32 v74, v60, v151
	v_add_f32_e32 v75, v78, v137
	v_fma_f32 v62, -0.5, v61, v62
	v_dual_fmac_f32 v63, -0.5, v81 :: v_dual_add_f32 v76, v83, v76
	v_fma_f32 v66, -0.5, v143, v66
	v_dual_fmac_f32 v57, -0.5, v148 :: v_dual_fmac_f32 v58, v126, v2
	v_fma_f32 v61, v119, v0, -v157
	v_fmac_f32_e32 v59, v120, v0
	v_fma_f32 v60, v125, v2, -v158
	v_dual_fmamk_f32 v72, v77, 0x3f5db3d7, v68 :: v_dual_fmac_f32 v69, 0x3f5db3d7, v79
	v_fma_f32 v78, -0.5, v135, v64
	v_fma_f32 v79, -0.5, v139, v65
	v_add_f32_e32 v83, v155, v150
	v_dual_fmamk_f32 v119, v127, 0x3f5db3d7, v62 :: v_dual_add_f32 v64, v61, v60
	v_fmac_f32_e32 v62, 0xbf5db3d7, v127
	v_fmamk_f32 v127, v145, 0x3f5db3d7, v66
	v_fmac_f32_e32 v66, 0xbf5db3d7, v145
	v_dual_fmamk_f32 v120, v128, 0xbf5db3d7, v63 :: v_dual_add_f32 v137, v59, v58
	v_dual_add_f32 v147, v67, v144 :: v_dual_add_f32 v144, v144, v146
	v_dual_fmac_f32 v68, 0xbf5db3d7, v77 :: v_dual_add_f32 v77, v138, v142
	v_fmamk_f32 v125, v136, 0x3f5db3d7, v78
	v_dual_fmac_f32 v78, 0xbf5db3d7, v136 :: v_dual_sub_f32 v65, v59, v58
	v_fmamk_f32 v126, v140, 0xbf5db3d7, v79
	ds_store_b64 v129, v[72:73] offset:2312
	ds_store_b64 v129, v[68:69] offset:4624
	v_sub_f32_e32 v69, v61, v60
	v_fma_f32 v64, -0.5, v64, v121
	v_fma_f32 v68, -0.5, v137, v122
	v_dual_fmac_f32 v67, -0.5, v144 :: v_dual_add_f32 v82, v152, v82
	v_fmac_f32_e32 v63, 0x3f5db3d7, v128
	v_fmac_f32_e32 v79, 0x3f5db3d7, v140
	v_fma_f32 v56, -0.5, v153, v56
	v_dual_add_f32 v80, v141, v80 :: v_dual_add_f32 v81, v147, v146
	v_fmamk_f32 v136, v156, 0xbf5db3d7, v57
	ds_store_2addr_b64 v129, v[70:71], v[74:75] offset1:51
	ds_store_2addr_b64 v131, v[119:120], v[125:126] offset0:84 offset1:135
	ds_store_2addr_b64 v132, v[62:63], v[78:79] offset0:117 offset1:168
	v_fmamk_f32 v119, v65, 0xbf5db3d7, v64
	v_fmamk_f32 v120, v69, 0x3f5db3d7, v68
	;; [unrolled: 1-line block ×3, first 2 shown]
	v_fmac_f32_e32 v67, 0x3f5db3d7, v149
	v_fmamk_f32 v135, v154, 0x3f5db3d7, v56
	v_fmac_f32_e32 v56, 0xbf5db3d7, v154
	v_fmac_f32_e32 v57, 0x3f5db3d7, v156
	ds_store_2addr_b64 v129, v[76:77], v[80:81] offset0:102 offset1:153
	ds_store_b64 v129, v[66:67] offset:5848
	ds_store_b64 v129, v[82:83] offset:1632
	ds_store_2addr_b64 v131, v[127:128], v[135:136] offset0:186 offset1:237
	ds_store_b64 v129, v[56:57] offset:6256
	s_and_saveexec_b32 s0, vcc_lo
	s_cbranch_execz .LBB0_5
; %bb.4:
	v_dual_mul_f32 v56, 0x3f5db3d7, v69 :: v_dual_add_f32 v59, v122, v59
	s_delay_alu instid0(VALU_DEP_1) | instskip(NEXT) | instid1(VALU_DEP_1)
	v_dual_mul_f32 v62, 0x3f5db3d7, v65 :: v_dual_sub_f32 v57, v68, v56
	v_dual_add_f32 v61, v121, v61 :: v_dual_add_f32 v56, v62, v64
	s_delay_alu instid0(VALU_DEP_1)
	v_dual_add_f32 v59, v59, v58 :: v_dual_add_f32 v58, v61, v60
	ds_store_b64 v129, v[58:59] offset:2040
	ds_store_b64 v129, v[56:57] offset:4352
	;; [unrolled: 1-line block ×3, first 2 shown]
.LBB0_5:
	s_wait_alu 0xfffe
	s_or_b32 exec_lo, exec_lo, s0
	s_add_nc_u64 s[0:1], s[8:9], 0x1b18
	global_wb scope:SCOPE_SE
	s_wait_dscnt 0x0
	s_barrier_signal -1
	s_barrier_wait -1
	global_inv scope:SCOPE_SE
	s_clause 0x10
	global_load_b64 v[60:61], v[123:124], off offset:6936
	global_load_b64 v[62:63], v129, s[0:1] offset:408
	global_load_b64 v[121:122], v129, s[0:1] offset:816
	global_load_b64 v[126:127], v129, s[0:1] offset:1224
	global_load_b64 v[131:132], v129, s[0:1] offset:1632
	global_load_b64 v[135:136], v129, s[0:1] offset:2040
	global_load_b64 v[137:138], v129, s[0:1] offset:2448
	global_load_b64 v[139:140], v129, s[0:1] offset:2856
	global_load_b64 v[141:142], v129, s[0:1] offset:3264
	global_load_b64 v[143:144], v129, s[0:1] offset:3672
	global_load_b64 v[145:146], v129, s[0:1] offset:4080
	global_load_b64 v[147:148], v129, s[0:1] offset:4488
	global_load_b64 v[149:150], v129, s[0:1] offset:4896
	global_load_b64 v[151:152], v129, s[0:1] offset:5304
	global_load_b64 v[153:154], v129, s[0:1] offset:5712
	global_load_b64 v[155:156], v129, s[0:1] offset:6120
	global_load_b64 v[157:158], v129, s[0:1] offset:6528
	ds_load_2addr_b64 v[56:59], v129 offset1:51
	s_wait_loadcnt_dscnt 0xf00
	v_dual_mul_f32 v65, v57, v61 :: v_dual_mul_f32 v66, v59, v63
	v_dual_mul_f32 v64, v56, v61 :: v_dual_mul_f32 v61, v58, v63
	s_delay_alu instid0(VALU_DEP_2) | instskip(NEXT) | instid1(VALU_DEP_2)
	v_fma_f32 v63, v56, v60, -v65
	v_dual_fmac_f32 v64, v57, v60 :: v_dual_fmac_f32 v61, v59, v62
	s_delay_alu instid0(VALU_DEP_4)
	v_fma_f32 v60, v58, v62, -v66
	ds_store_2addr_b64 v129, v[63:64], v[60:61] offset1:51
	ds_load_2addr_b64 v[56:59], v129 offset0:102 offset1:153
	v_add_nc_u32_e32 v123, 0x800, v129
	v_add_nc_u32_e32 v125, 0xc00, v129
	s_wait_loadcnt_dscnt 0xe00
	v_dual_mul_f32 v161, v57, v122 :: v_dual_add_nc_u32 v124, 0x1000, v129
	v_mul_f32_e32 v128, v56, v122
	ds_load_2addr_b64 v[60:63], v129 offset0:204 offset1:255
	ds_load_2addr_b64 v[64:67], v123 offset0:50 offset1:101
	s_wait_loadcnt 0xd
	v_mul_f32_e32 v122, v58, v127
	ds_load_2addr_b64 v[68:71], v123 offset0:152 offset1:203
	ds_load_2addr_b64 v[72:75], v125 offset0:126 offset1:177
	;; [unrolled: 1-line block ×4, first 2 shown]
	ds_load_b64 v[159:160], v129 offset:6528
	v_mul_f32_e32 v163, v59, v127
	v_fma_f32 v127, v56, v121, -v161
	v_fmac_f32_e32 v128, v57, v121
	v_fmac_f32_e32 v122, v59, v126
	s_wait_loadcnt_dscnt 0x704
	v_dual_mul_f32 v168, v69, v142 :: v_dual_mul_f32 v169, v71, v144
	v_mul_f32_e32 v164, v61, v132
	v_mul_f32_e32 v162, v60, v132
	v_dual_mul_f32 v165, v63, v136 :: v_dual_mul_f32 v166, v65, v138
	v_mul_f32_e32 v132, v62, v136
	v_dual_mul_f32 v136, v64, v138 :: v_dual_mul_f32 v167, v67, v140
	v_mul_f32_e32 v138, v66, v140
	s_wait_loadcnt_dscnt 0x503
	v_dual_mul_f32 v140, v68, v142 :: v_dual_mul_f32 v171, v75, v148
	v_mul_f32_e32 v142, v70, v144
	s_wait_loadcnt_dscnt 0x302
	v_dual_mul_f32 v170, v73, v146 :: v_dual_mul_f32 v173, v79, v152
	s_wait_loadcnt_dscnt 0x101
	v_dual_mul_f32 v144, v72, v146 :: v_dual_mul_f32 v175, v83, v156
	v_mul_f32_e32 v146, v74, v148
	v_mul_f32_e32 v172, v77, v150
	;; [unrolled: 1-line block ×7, first 2 shown]
	s_wait_loadcnt_dscnt 0x0
	v_mul_f32_e32 v176, v160, v158
	v_mul_f32_e32 v156, v159, v158
	v_fma_f32 v121, v58, v126, -v163
	v_fma_f32 v161, v60, v131, -v164
	v_fmac_f32_e32 v162, v61, v131
	v_fma_f32 v131, v62, v135, -v165
	v_fmac_f32_e32 v132, v63, v135
	;; [unrolled: 2-line block ×13, first 2 shown]
	ds_store_2addr_b64 v129, v[127:128], v[121:122] offset0:102 offset1:153
	ds_store_2addr_b64 v129, v[161:162], v[131:132] offset0:204 offset1:255
	;; [unrolled: 1-line block ×7, first 2 shown]
	ds_store_b64 v129, v[155:156] offset:6528
	global_wb scope:SCOPE_SE
	s_wait_dscnt 0x0
	s_barrier_signal -1
	s_barrier_wait -1
	global_inv scope:SCOPE_SE
	ds_load_2addr_b64 v[80:83], v129 offset1:51
	ds_load_b64 v[121:122], v129 offset:6528
	ds_load_2addr_b64 v[135:138], v129 offset0:102 offset1:153
	ds_load_2addr_b64 v[76:79], v124 offset0:202 offset1:253
	;; [unrolled: 1-line block ×7, first 2 shown]
	global_wb scope:SCOPE_SE
	s_wait_dscnt 0x0
	s_barrier_signal -1
	s_barrier_wait -1
	global_inv scope:SCOPE_SE
	v_add_f32_e32 v127, v81, v83
	v_add_f32_e32 v131, v122, v83
	v_sub_f32_e32 v83, v83, v122
	v_dual_add_f32 v139, v79, v136 :: v_dual_add_f32 v126, v80, v82
	v_add_f32_e32 v128, v121, v82
	v_sub_f32_e32 v82, v82, v121
	s_delay_alu instid0(VALU_DEP_3)
	v_dual_sub_f32 v140, v135, v78 :: v_dual_mul_f32 v173, 0xbe8c1d8e, v139
	v_add_f32_e32 v143, v77, v138
	v_dual_add_f32 v127, v127, v136 :: v_dual_add_f32 v132, v78, v135
	v_mul_f32_e32 v159, 0xbf1a4643, v131
	v_mul_f32_e32 v161, 0xbf59a7d5, v131
	;; [unrolled: 1-line block ×3, first 2 shown]
	s_delay_alu instid0(VALU_DEP_4)
	v_dual_add_f32 v127, v127, v138 :: v_dual_mul_f32 v150, 0xbf2c7751, v83
	v_mul_f32_e32 v167, 0xbf1a4643, v139
	v_mul_f32_e32 v169, 0xbf7ba420, v139
	v_add_f32_e32 v126, v126, v135
	v_mul_f32_e32 v135, 0xbeb8f4ab, v83
	v_fmamk_f32 v201, v128, 0x3f3d2fb0, v150
	v_mul_f32_e32 v171, 0xbf59a7d5, v139
	v_mul_f32_e32 v158, 0xbf4c4adb, v83
	v_sub_f32_e32 v141, v136, v79
	v_dual_add_f32 v142, v76, v137 :: v_dual_mul_f32 v175, 0x3ee437d1, v139
	v_sub_f32_e32 v144, v137, v76
	v_sub_f32_e32 v149, v69, v75
	v_mul_f32_e32 v151, 0x3f3d2fb0, v131
	v_mul_f32_e32 v153, 0x3ee437d1, v131
	v_mul_f32_e32 v155, 0x3dbcf732, v131
	v_mul_f32_e32 v165, 0x3dbcf732, v139
	v_mul_f32_e32 v139, 0x3f6eb680, v139
	v_mul_f32_e32 v154, 0xbf7ee86f, v83
	v_dual_mul_f32 v181, 0xbf7ba420, v143 :: v_dual_add_f32 v126, v126, v137
	v_fmamk_f32 v137, v128, 0x3f6eb680, v135
	v_mul_f32_e32 v156, 0xbf763a35, v83
	v_fmamk_f32 v210, v82, 0x3f4c4adb, v159
	v_fmac_f32_e32 v159, 0xbf4c4adb, v82
	v_fmamk_f32 v209, v128, 0xbf1a4643, v158
	v_fmamk_f32 v212, v82, 0x3f06c442, v161
	v_sub_f32_e32 v145, v138, v77
	v_dual_add_f32 v146, v74, v68 :: v_dual_mul_f32 v177, 0x3ee437d1, v143
	v_dual_add_f32 v147, v75, v69 :: v_dual_sub_f32 v148, v68, v74
	v_mul_f32_e32 v179, 0xbf1a4643, v143
	v_mul_f32_e32 v157, 0xbe8c1d8e, v131
	;; [unrolled: 1-line block ×10, first 2 shown]
	v_fma_f32 v135, 0x3f6eb680, v128, -v135
	v_mul_f32_e32 v162, 0xbf2c7751, v141
	v_mul_f32_e32 v141, 0x3eb8f4ab, v141
	v_mul_f32_e32 v136, 0x3f6eb680, v131
	v_mul_f32_e32 v131, 0xbf7ba420, v131
	v_dual_fmamk_f32 v216, v140, 0x3f7ee86f, v165 :: v_dual_add_f32 v69, v127, v69
	v_fmac_f32_e32 v165, 0xbf7ee86f, v140
	v_add_f32_e32 v137, v80, v137
	v_add_f32_e32 v159, v81, v159
	v_dual_fmamk_f32 v207, v128, 0xbe8c1d8e, v156 :: v_dual_add_f32 v212, v81, v212
	v_fmamk_f32 v206, v82, 0x3f7ee86f, v155
	v_dual_add_f32 v68, v126, v68 :: v_dual_add_f32 v209, v80, v209
	s_delay_alu instid0(VALU_DEP_3)
	v_add_f32_e32 v207, v80, v207
	v_dual_fmamk_f32 v205, v128, 0x3dbcf732, v154 :: v_dual_add_f32 v210, v81, v210
	v_fmamk_f32 v204, v82, 0x3f65296c, v153
	v_fmac_f32_e32 v153, 0xbf65296c, v82
	v_fmamk_f32 v202, v82, 0x3f2c7751, v151
	v_fmac_f32_e32 v151, 0xbf2c7751, v82
	v_mul_f32_e32 v152, 0xbf65296c, v83
	v_dual_mul_f32 v160, 0xbf06c442, v83 :: v_dual_fmac_f32 v161, 0xbf06c442, v82
	v_mul_f32_e32 v83, 0xbe3c28d5, v83
	s_delay_alu instid0(VALU_DEP_4)
	v_dual_mul_f32 v176, 0xbf65296c, v145 :: v_dual_add_f32 v151, v81, v151
	v_mul_f32_e32 v180, 0x3e3c28d5, v145
	v_dual_mul_f32 v197, 0x3f6eb680, v147 :: v_dual_add_f32 v206, v81, v206
	v_fma_f32 v150, 0x3f3d2fb0, v128, -v150
	v_fmac_f32_e32 v155, 0xbf7ee86f, v82
	v_fmamk_f32 v208, v82, 0x3f763a35, v157
	v_fma_f32 v156, 0xbe8c1d8e, v128, -v156
	v_fmac_f32_e32 v157, 0xbf763a35, v82
	v_fmamk_f32 v214, v82, 0x3e3c28d5, v131
	v_fmac_f32_e32 v131, 0xbe3c28d5, v82
	v_fmamk_f32 v227, v132, 0x3f6eb680, v141
	v_fmamk_f32 v138, v82, 0x3eb8f4ab, v136
	v_dual_fmac_f32 v136, 0xbeb8f4ab, v82 :: v_dual_add_f32 v201, v80, v201
	v_add_f32_e32 v135, v80, v135
	v_dual_mul_f32 v185, 0x3f3d2fb0, v143 :: v_dual_fmamk_f32 v82, v132, 0x3f3d2fb0, v162
	v_fma_f32 v162, 0x3f3d2fb0, v132, -v162
	v_mul_f32_e32 v178, 0xbf4c4adb, v145
	v_dual_mul_f32 v187, 0x3f6eb680, v143 :: v_dual_add_f32 v136, v81, v136
	v_dual_mul_f32 v191, 0x3dbcf732, v147 :: v_dual_add_f32 v150, v80, v150
	v_mul_f32_e32 v188, 0xbf7ee86f, v145
	v_mul_f32_e32 v192, 0xbe3c28d5, v149
	v_dual_mul_f32 v198, 0xbf65296c, v149 :: v_dual_add_f32 v155, v81, v155
	v_fma_f32 v154, 0x3dbcf732, v128, -v154
	v_dual_fmamk_f32 v213, v128, 0xbf7ba420, v83 :: v_dual_add_f32 v82, v82, v137
	v_fmamk_f32 v218, v140, 0x3f4c4adb, v167
	v_fmac_f32_e32 v167, 0xbf4c4adb, v140
	v_dual_fmamk_f32 v220, v140, 0x3e3c28d5, v169 :: v_dual_add_f32 v69, v69, v71
	v_fmac_f32_e32 v169, 0xbe3c28d5, v140
	v_dual_fmamk_f32 v222, v140, 0xbf06c442, v171 :: v_dual_add_f32 v127, v162, v135
	;; [unrolled: 2-line block ×5, first 2 shown]
	v_fmamk_f32 v240, v144, 0x3f7ee86f, v189
	v_fmac_f32_e32 v189, 0xbf7ee86f, v144
	v_fmamk_f32 v215, v132, 0x3dbcf732, v164
	v_fma_f32 v164, 0x3dbcf732, v132, -v164
	v_fmamk_f32 v224, v140, 0xbf763a35, v173
	v_fmac_f32_e32 v173, 0x3f763a35, v140
	v_fmamk_f32 v223, v132, 0xbe8c1d8e, v172
	v_fma_f32 v172, 0xbe8c1d8e, v132, -v172
	v_add_f32_e32 v153, v81, v153
	v_fmamk_f32 v221, v132, 0xbf59a7d5, v170
	v_fma_f32 v170, 0xbf59a7d5, v132, -v170
	v_fmamk_f32 v225, v132, 0x3ee437d1, v174
	v_fma_f32 v174, 0x3ee437d1, v132, -v174
	v_add_f32_e32 v205, v80, v205
	v_dual_mul_f32 v193, 0xbf7ba420, v147 :: v_dual_add_f32 v204, v81, v204
	v_fmamk_f32 v217, v132, 0xbf1a4643, v166
	v_fma_f32 v166, 0xbf1a4643, v132, -v166
	v_fmamk_f32 v219, v132, 0xbf7ba420, v168
	v_fma_f32 v168, 0xbf7ba420, v132, -v168
	v_fma_f32 v132, 0x3f6eb680, v132, -v141
	v_fmamk_f32 v141, v144, 0x3f65296c, v177
	v_fmac_f32_e32 v177, 0xbf65296c, v144
	v_add_f32_e32 v157, v81, v157
	v_dual_fmamk_f32 v203, v128, 0x3ee437d1, v152 :: v_dual_add_f32 v208, v81, v208
	v_fma_f32 v152, 0x3ee437d1, v128, -v152
	v_mul_f32_e32 v184, 0x3f2c7751, v145
	v_mul_f32_e32 v186, 0xbeb8f4ab, v145
	;; [unrolled: 1-line block ×5, first 2 shown]
	v_fma_f32 v158, 0xbf1a4643, v128, -v158
	v_dual_fmamk_f32 v211, v128, 0xbf59a7d5, v160 :: v_dual_add_f32 v126, v81, v214
	v_fma_f32 v160, 0xbf59a7d5, v128, -v160
	v_fma_f32 v83, 0xbf7ba420, v128, -v83
	v_dual_fmamk_f32 v128, v140, 0x3f2c7751, v163 :: v_dual_add_f32 v161, v81, v161
	v_fmac_f32_e32 v163, 0xbf2c7751, v140
	v_fmamk_f32 v230, v144, 0x3f4c4adb, v179
	v_fmac_f32_e32 v179, 0xbf4c4adb, v144
	v_dual_fmamk_f32 v229, v142, 0xbf1a4643, v178 :: v_dual_add_f32 v154, v80, v154
	v_dual_fmamk_f32 v239, v142, 0x3dbcf732, v188 :: v_dual_add_f32 v68, v68, v70
	v_dual_add_f32 v202, v81, v202 :: v_dual_add_f32 v203, v80, v203
	v_add_f32_e32 v152, v80, v152
	v_fmamk_f32 v228, v140, 0xbeb8f4ab, v139
	v_fmac_f32_e32 v139, 0x3eb8f4ab, v140
	v_fmamk_f32 v248, v148, 0xbeb8f4ab, v197
	v_fmac_f32_e32 v197, 0x3eb8f4ab, v148
	v_dual_mul_f32 v183, 0xbe8c1d8e, v143 :: v_dual_add_f32 v138, v81, v138
	v_mul_f32_e32 v182, 0x3f763a35, v145
	v_mul_f32_e32 v145, 0xbf06c442, v145
	;; [unrolled: 1-line block ×4, first 2 shown]
	v_fmamk_f32 v140, v142, 0x3ee437d1, v176
	v_fma_f32 v176, 0x3ee437d1, v142, -v176
	v_fma_f32 v178, 0xbf1a4643, v142, -v178
	;; [unrolled: 1-line block ×3, first 2 shown]
	v_dual_fmamk_f32 v236, v144, 0xbf2c7751, v185 :: v_dual_add_f32 v157, v171, v157
	v_fmac_f32_e32 v185, 0x3f2c7751, v144
	v_dual_fmamk_f32 v235, v142, 0x3f3d2fb0, v184 :: v_dual_add_f32 v160, v80, v160
	v_fma_f32 v184, 0x3f3d2fb0, v142, -v184
	v_fmamk_f32 v238, v144, 0x3eb8f4ab, v187
	v_fmac_f32_e32 v187, 0xbeb8f4ab, v144
	v_fmamk_f32 v237, v142, 0x3f6eb680, v186
	v_fmamk_f32 v241, v142, 0xbf59a7d5, v145
	v_dual_fmamk_f32 v244, v148, 0x3e3c28d5, v193 :: v_dual_add_f32 v161, v175, v161
	v_dual_fmac_f32 v193, 0xbe3c28d5, v148 :: v_dual_add_f32 v154, v168, v154
	v_dual_fmamk_f32 v250, v148, 0x3f65296c, v199 :: v_dual_add_f32 v69, v69, v61
	v_add_f32_e32 v158, v80, v158
	v_add_f32_e32 v211, v80, v211
	;; [unrolled: 1-line block ×6, first 2 shown]
	v_dual_add_f32 v83, v128, v138 :: v_dual_add_f32 v128, v163, v136
	v_dual_add_f32 v131, v215, v201 :: v_dual_add_f32 v136, v164, v150
	v_add_f32_e32 v150, v218, v204
	v_dual_add_f32 v138, v217, v203 :: v_dual_add_f32 v151, v166, v152
	v_add_f32_e32 v152, v167, v153
	v_dual_fmamk_f32 v234, v144, 0xbf763a35, v183 :: v_dual_add_f32 v163, v221, v207
	v_fmac_f32_e32 v183, 0x3f763a35, v144
	v_fmamk_f32 v233, v142, 0xbe8c1d8e, v182
	v_fma_f32 v182, 0xbe8c1d8e, v142, -v182
	v_dual_add_f32 v153, v219, v205 :: v_dual_add_f32 v164, v222, v208
	v_dual_add_f32 v156, v170, v156 :: v_dual_add_f32 v165, v223, v209
	;; [unrolled: 1-line block ×3, first 2 shown]
	v_fma_f32 v186, 0x3f6eb680, v142, -v186
	v_dual_fmamk_f32 v243, v146, 0xbf7ba420, v192 :: v_dual_add_f32 v162, v220, v206
	v_dual_fmamk_f32 v247, v146, 0x3f6eb680, v196 :: v_dual_add_f32 v158, v172, v158
	v_dual_add_f32 v166, v224, v210 :: v_dual_add_f32 v159, v173, v159
	v_add_f32_e32 v168, v226, v212
	v_dual_add_f32 v80, v132, v80 :: v_dual_add_f32 v81, v139, v81
	v_add_f32_e32 v82, v140, v82
	;; [unrolled: 2-line block ×3, first 2 shown]
	v_dual_fmamk_f32 v246, v148, 0xbf763a35, v195 :: v_dual_add_f32 v169, v227, v213
	v_fmac_f32_e32 v195, 0x3f763a35, v148
	v_fmamk_f32 v245, v146, 0xbe8c1d8e, v194
	v_add_f32_e32 v132, v230, v135
	v_add_f32_e32 v83, v141, v83
	v_dual_add_f32 v135, v178, v136 :: v_dual_add_f32 v136, v179, v137
	v_add_f32_e32 v137, v231, v138
	v_dual_add_f32 v138, v232, v150 :: v_dual_add_f32 v141, v233, v153
	v_dual_add_f32 v139, v180, v151 :: v_dual_add_f32 v150, v234, v162
	;; [unrolled: 1-line block ×3, first 2 shown]
	v_add_f32_e32 v153, v235, v163
	v_dual_add_f32 v155, v184, v156 :: v_dual_add_f32 v162, v238, v166
	v_add_f32_e32 v156, v185, v157
	v_dual_add_f32 v157, v237, v165 :: v_dual_add_f32 v68, v68, v62
	v_dual_add_f32 v69, v69, v63 :: v_dual_add_f32 v158, v186, v158
	v_fma_f32 v188, 0x3dbcf732, v142, -v188
	v_fma_f32 v142, 0xbf59a7d5, v142, -v145
	v_dual_fmamk_f32 v145, v148, 0x3f7ee86f, v191 :: v_dual_add_f32 v160, v174, v160
	v_dual_add_f32 v159, v187, v159 :: v_dual_add_f32 v68, v68, v56
	v_dual_add_f32 v69, v69, v57 :: v_dual_fmamk_f32 v242, v144, 0x3f06c442, v143
	v_add_f32_e32 v167, v225, v211
	v_dual_fmamk_f32 v249, v146, 0x3ee437d1, v198 :: v_dual_add_f32 v126, v228, v126
	v_dual_add_f32 v160, v188, v160 :: v_dual_add_f32 v161, v189, v161
	s_delay_alu instid0(VALU_DEP_4) | instskip(NEXT) | instid1(VALU_DEP_3)
	v_dual_add_f32 v68, v68, v58 :: v_dual_add_f32 v69, v69, v59
	v_add_f32_e32 v126, v242, v126
	v_dual_mul_f32 v200, 0xbf06c442, v149 :: v_dual_fmac_f32 v143, 0xbf06c442, v144
	s_delay_alu instid0(VALU_DEP_3) | instskip(SKIP_3) | instid1(VALU_DEP_4)
	v_dual_add_f32 v68, v68, v64 :: v_dual_add_f32 v69, v69, v65
	v_fmamk_f32 v144, v146, 0x3dbcf732, v190
	v_fma_f32 v190, 0x3dbcf732, v146, -v190
	v_fmac_f32_e32 v191, 0xbf7ee86f, v148
	v_dual_add_f32 v83, v145, v83 :: v_dual_add_f32 v68, v68, v66
	v_add_f32_e32 v69, v69, v67
	s_delay_alu instid0(VALU_DEP_3) | instskip(SKIP_1) | instid1(VALU_DEP_3)
	v_dual_add_f32 v127, v190, v127 :: v_dual_add_f32 v128, v191, v128
	v_fma_f32 v198, 0x3ee437d1, v146, -v198
	v_dual_add_f32 v68, v68, v72 :: v_dual_add_f32 v69, v69, v73
	v_fma_f32 v194, 0xbe8c1d8e, v146, -v194
	v_fma_f32 v196, 0x3f6eb680, v146, -v196
	v_add_f32_e32 v154, v236, v164
	s_delay_alu instid0(VALU_DEP_4) | instskip(SKIP_2) | instid1(VALU_DEP_3)
	v_dual_add_f32 v68, v68, v74 :: v_dual_add_f32 v69, v69, v75
	v_dual_add_f32 v81, v143, v81 :: v_dual_add_f32 v82, v144, v82
	v_dual_add_f32 v74, v245, v137 :: v_dual_add_f32 v75, v246, v138
	v_dual_add_f32 v68, v68, v76 :: v_dual_add_f32 v69, v69, v77
	v_dual_add_f32 v138, v248, v150 :: v_dual_add_f32 v77, v247, v141
	v_dual_add_f32 v141, v198, v155 :: v_dual_mul_f32 v144, 0x3f4c4adb, v149
	s_delay_alu instid0(VALU_DEP_3)
	v_dual_add_f32 v68, v68, v78 :: v_dual_add_f32 v69, v69, v79
	v_dual_add_f32 v163, v239, v167 :: v_dual_add_f32 v164, v240, v168
	;; [unrolled: 1-line block ×5, first 2 shown]
	v_add_f32_e32 v139, v249, v153
	v_dual_add_f32 v68, v68, v121 :: v_dual_fmac_f32 v199, 0xbf65296c, v148
	v_add_f32_e32 v140, v250, v154
	v_dual_add_f32 v69, v69, v122 :: v_dual_fmamk_f32 v122, v146, 0xbf59a7d5, v200
	v_mul_f32_e32 v121, 0xbf59a7d5, v147
	v_fma_f32 v145, 0xbf59a7d5, v146, -v200
	v_dual_mul_f32 v150, 0xbf1a4643, v147 :: v_dual_fmamk_f32 v151, v146, 0xbf1a4643, v144
	v_mul_f32_e32 v149, 0x3f2c7751, v149
	v_mul_f32_e32 v147, 0x3f3d2fb0, v147
	v_dual_add_f32 v131, v243, v131 :: v_dual_add_f32 v132, v244, v132
	v_dual_add_f32 v122, v122, v157 :: v_dual_add_f32 v145, v145, v158
	v_dual_fmamk_f32 v152, v148, 0xbf4c4adb, v150 :: v_dual_add_f32 v151, v151, v163
	v_fmac_f32_e32 v150, 0x3f4c4adb, v148
	v_fmamk_f32 v143, v148, 0x3f06c442, v121
	v_dual_fmac_f32 v121, 0xbf06c442, v148 :: v_dual_sub_f32 v154, v71, v73
	v_fmamk_f32 v155, v148, 0xbf2c7751, v147
	v_add_f32_e32 v71, v73, v71
	v_dual_add_f32 v73, v72, v70 :: v_dual_sub_f32 v70, v70, v72
	s_delay_alu instid0(VALU_DEP_3) | instskip(SKIP_3) | instid1(VALU_DEP_4)
	v_dual_fmamk_f32 v153, v146, 0x3f3d2fb0, v149 :: v_dual_add_f32 v126, v155, v126
	v_fma_f32 v192, 0xbf7ba420, v146, -v192
	v_fma_f32 v144, 0xbf1a4643, v146, -v144
	;; [unrolled: 1-line block ×3, first 2 shown]
	v_dual_add_f32 v153, v153, v165 :: v_dual_mul_f32 v72, 0xbe8c1d8e, v71
	s_delay_alu instid0(VALU_DEP_4) | instskip(NEXT) | instid1(VALU_DEP_3)
	v_dual_add_f32 v135, v192, v135 :: v_dual_add_f32 v136, v193, v136
	v_add_f32_e32 v80, v146, v80
	v_fmac_f32_e32 v147, 0x3f2c7751, v148
	s_delay_alu instid0(VALU_DEP_4) | instskip(SKIP_3) | instid1(VALU_DEP_4)
	v_fmamk_f32 v146, v70, 0x3f763a35, v72
	v_fmac_f32_e32 v72, 0xbf763a35, v70
	v_add_f32_e32 v152, v152, v164
	v_dual_add_f32 v150, v150, v161 :: v_dual_add_f32 v143, v143, v162
	v_add_f32_e32 v83, v146, v83
	s_delay_alu instid0(VALU_DEP_4) | instskip(SKIP_3) | instid1(VALU_DEP_4)
	v_dual_mul_f32 v149, 0xbf763a35, v154 :: v_dual_add_f32 v72, v72, v128
	v_mul_f32_e32 v128, 0x3f2c7751, v154
	v_dual_add_f32 v142, v199, v156 :: v_dual_add_f32 v121, v121, v159
	v_add_f32_e32 v144, v144, v160
	v_fmamk_f32 v148, v73, 0xbe8c1d8e, v149
	s_delay_alu instid0(VALU_DEP_1) | instskip(SKIP_2) | instid1(VALU_DEP_2)
	v_dual_add_f32 v82, v148, v82 :: v_dual_add_f32 v81, v147, v81
	v_mul_f32_e32 v147, 0x3f06c442, v154
	v_fma_f32 v148, 0xbe8c1d8e, v73, -v149
	v_dual_mul_f32 v149, 0xbf59a7d5, v71 :: v_dual_fmamk_f32 v146, v73, 0xbf59a7d5, v147
	s_delay_alu instid0(VALU_DEP_2) | instskip(NEXT) | instid1(VALU_DEP_2)
	v_add_f32_e32 v127, v148, v127
	v_add_f32_e32 v131, v146, v131
	s_delay_alu instid0(VALU_DEP_3) | instskip(SKIP_2) | instid1(VALU_DEP_3)
	v_fmamk_f32 v146, v70, 0xbf06c442, v149
	v_dual_fmamk_f32 v148, v73, 0x3f3d2fb0, v128 :: v_dual_mul_f32 v155, 0x3f3d2fb0, v71
	v_fma_f32 v128, 0x3f3d2fb0, v73, -v128
	v_dual_fmac_f32 v149, 0x3f06c442, v70 :: v_dual_add_f32 v132, v146, v132
	s_delay_alu instid0(VALU_DEP_3) | instskip(SKIP_1) | instid1(VALU_DEP_4)
	v_add_f32_e32 v74, v148, v74
	v_mul_f32_e32 v148, 0x3ee437d1, v71
	v_add_f32_e32 v128, v128, v137
	s_delay_alu instid0(VALU_DEP_4) | instskip(SKIP_1) | instid1(VALU_DEP_4)
	v_dual_add_f32 v136, v149, v136 :: v_dual_mul_f32 v149, 0xbe3c28d5, v154
	v_fma_f32 v147, 0xbf59a7d5, v73, -v147
	v_fmamk_f32 v137, v70, 0x3f65296c, v148
	s_delay_alu instid0(VALU_DEP_2) | instskip(NEXT) | instid1(VALU_DEP_2)
	v_dual_fmamk_f32 v146, v70, 0xbf2c7751, v155 :: v_dual_add_f32 v135, v147, v135
	v_add_f32_e32 v137, v137, v138
	v_fmamk_f32 v138, v73, 0xbf7ba420, v149
	s_delay_alu instid0(VALU_DEP_1) | instskip(NEXT) | instid1(VALU_DEP_1)
	v_dual_fmac_f32 v155, 0x3f2c7751, v70 :: v_dual_add_f32 v138, v138, v139
	v_dual_mul_f32 v147, 0xbf65296c, v154 :: v_dual_add_f32 v76, v155, v76
	v_add_f32_e32 v75, v146, v75
	v_mul_f32_e32 v155, 0x3dbcf732, v71
	s_delay_alu instid0(VALU_DEP_3) | instskip(NEXT) | instid1(VALU_DEP_1)
	v_fmamk_f32 v146, v73, 0x3ee437d1, v147
	v_add_f32_e32 v77, v146, v77
	v_fma_f32 v146, 0x3ee437d1, v73, -v147
	v_mul_f32_e32 v147, 0xbf7ba420, v71
	s_delay_alu instid0(VALU_DEP_1) | instskip(SKIP_2) | instid1(VALU_DEP_3)
	v_fmamk_f32 v139, v70, 0x3e3c28d5, v147
	v_fmac_f32_e32 v148, 0xbf65296c, v70
	v_fmac_f32_e32 v147, 0xbe3c28d5, v70
	v_dual_add_f32 v139, v139, v140 :: v_dual_add_f32 v78, v146, v78
	s_delay_alu instid0(VALU_DEP_3) | instskip(SKIP_1) | instid1(VALU_DEP_1)
	v_add_f32_e32 v79, v148, v79
	v_fma_f32 v148, 0xbf7ba420, v73, -v149
	v_dual_add_f32 v140, v148, v141 :: v_dual_add_f32 v141, v147, v142
	v_mul_f32_e32 v148, 0x3f6eb680, v71
	v_fmamk_f32 v142, v70, 0xbf7ee86f, v155
	v_mul_f32_e32 v147, 0xbeb8f4ab, v154
	v_fmac_f32_e32 v155, 0x3f7ee86f, v70
	v_mul_f32_e32 v146, 0x3f7ee86f, v154
	s_delay_alu instid0(VALU_DEP_3) | instskip(NEXT) | instid1(VALU_DEP_3)
	v_dual_add_f32 v142, v142, v143 :: v_dual_fmamk_f32 v143, v73, 0x3f6eb680, v147
	v_add_f32_e32 v121, v155, v121
	v_fma_f32 v147, 0x3f6eb680, v73, -v147
	s_delay_alu instid0(VALU_DEP_4) | instskip(SKIP_1) | instid1(VALU_DEP_3)
	v_fmamk_f32 v149, v73, 0x3dbcf732, v146
	v_fma_f32 v146, 0x3dbcf732, v73, -v146
	v_add_f32_e32 v144, v147, v144
	s_delay_alu instid0(VALU_DEP_2) | instskip(SKIP_2) | instid1(VALU_DEP_2)
	v_dual_add_f32 v122, v149, v122 :: v_dual_add_f32 v145, v146, v145
	v_fmamk_f32 v146, v70, 0x3eb8f4ab, v148
	v_dual_fmac_f32 v148, 0xbeb8f4ab, v70 :: v_dual_sub_f32 v147, v61, v67
	v_dual_add_f32 v61, v67, v61 :: v_dual_add_f32 v146, v146, v152
	v_add_f32_e32 v152, v66, v60
	v_sub_f32_e32 v60, v60, v66
	v_mul_f32_e32 v149, 0xbf4c4adb, v154
	v_dual_add_f32 v143, v143, v151 :: v_dual_add_f32 v148, v148, v150
	s_delay_alu instid0(VALU_DEP_2) | instskip(SKIP_1) | instid1(VALU_DEP_2)
	v_fmamk_f32 v151, v73, 0xbf1a4643, v149
	v_fma_f32 v67, 0xbf1a4643, v73, -v149
	v_dual_add_f32 v150, v151, v153 :: v_dual_mul_f32 v153, 0xbf4c4adb, v147
	v_mul_f32_e32 v71, 0xbf1a4643, v71
	s_delay_alu instid0(VALU_DEP_2) | instskip(NEXT) | instid1(VALU_DEP_2)
	v_dual_add_f32 v67, v67, v80 :: v_dual_fmamk_f32 v66, v152, 0xbf1a4643, v153
	v_fmamk_f32 v151, v70, 0x3f4c4adb, v71
	v_fmac_f32_e32 v71, 0xbf4c4adb, v70
	v_mul_f32_e32 v70, 0xbf1a4643, v61
	s_delay_alu instid0(VALU_DEP_4) | instskip(NEXT) | instid1(VALU_DEP_2)
	v_add_f32_e32 v66, v66, v82
	v_fmamk_f32 v80, v60, 0x3f4c4adb, v70
	v_fmac_f32_e32 v70, 0xbf4c4adb, v60
	s_delay_alu instid0(VALU_DEP_2) | instskip(SKIP_1) | instid1(VALU_DEP_3)
	v_dual_add_f32 v80, v80, v83 :: v_dual_add_f32 v73, v151, v126
	v_mul_f32_e32 v126, 0xbe8c1d8e, v61
	v_add_f32_e32 v70, v70, v72
	v_fma_f32 v82, 0xbf1a4643, v152, -v153
	v_mul_f32_e32 v149, 0xbf59a7d5, v61
	s_delay_alu instid0(VALU_DEP_4) | instskip(SKIP_1) | instid1(VALU_DEP_4)
	v_fmamk_f32 v72, v60, 0xbf763a35, v126
	v_fmac_f32_e32 v126, 0x3f763a35, v60
	v_dual_add_f32 v82, v82, v127 :: v_dual_add_f32 v71, v71, v81
	s_delay_alu instid0(VALU_DEP_3) | instskip(SKIP_2) | instid1(VALU_DEP_3)
	v_dual_mul_f32 v81, 0x3f763a35, v147 :: v_dual_add_f32 v72, v72, v132
	v_mul_f32_e32 v127, 0xbeb8f4ab, v147
	v_mul_f32_e32 v132, 0x3f6eb680, v61
	v_dual_add_f32 v126, v126, v136 :: v_dual_fmamk_f32 v83, v152, 0xbe8c1d8e, v81
	v_fma_f32 v81, 0xbe8c1d8e, v152, -v81
	s_delay_alu instid0(VALU_DEP_2) | instskip(SKIP_1) | instid1(VALU_DEP_1)
	v_add_f32_e32 v83, v83, v131
	v_fmamk_f32 v131, v152, 0x3f6eb680, v127
	v_dual_add_f32 v81, v81, v135 :: v_dual_add_f32 v74, v131, v74
	v_fmamk_f32 v131, v60, 0x3eb8f4ab, v132
	v_fmac_f32_e32 v132, 0xbeb8f4ab, v60
	v_mul_f32_e32 v135, 0xbf06c442, v147
	v_fma_f32 v127, 0x3f6eb680, v152, -v127
	s_delay_alu instid0(VALU_DEP_3) | instskip(NEXT) | instid1(VALU_DEP_3)
	v_dual_add_f32 v75, v131, v75 :: v_dual_add_f32 v76, v132, v76
	v_fmamk_f32 v136, v152, 0xbf59a7d5, v135
	v_fma_f32 v132, 0xbf59a7d5, v152, -v135
	v_mul_f32_e32 v131, 0x3f7ee86f, v147
	v_dual_add_f32 v127, v127, v128 :: v_dual_fmamk_f32 v128, v60, 0x3f06c442, v149
	s_delay_alu instid0(VALU_DEP_4) | instskip(NEXT) | instid1(VALU_DEP_4)
	v_add_f32_e32 v77, v136, v77
	v_dual_add_f32 v78, v132, v78 :: v_dual_mul_f32 v135, 0x3dbcf732, v61
	s_delay_alu instid0(VALU_DEP_4) | instskip(SKIP_4) | instid1(VALU_DEP_4)
	v_fmamk_f32 v136, v152, 0x3dbcf732, v131
	v_fmac_f32_e32 v149, 0xbf06c442, v60
	v_fma_f32 v131, 0x3dbcf732, v152, -v131
	v_add_f32_e32 v128, v128, v137
	v_fmamk_f32 v132, v60, 0xbf7ee86f, v135
	v_dual_add_f32 v136, v136, v138 :: v_dual_add_f32 v79, v149, v79
	v_fmac_f32_e32 v135, 0x3f7ee86f, v60
	v_dual_add_f32 v131, v131, v140 :: v_dual_mul_f32 v140, 0xbe3c28d5, v147
	s_delay_alu instid0(VALU_DEP_4) | instskip(NEXT) | instid1(VALU_DEP_3)
	v_dual_add_f32 v132, v132, v139 :: v_dual_mul_f32 v139, 0x3f3d2fb0, v61
	v_add_f32_e32 v135, v135, v141
	v_mul_f32_e32 v149, 0xbf7ba420, v61
	s_delay_alu instid0(VALU_DEP_4) | instskip(SKIP_2) | instid1(VALU_DEP_2)
	v_fmamk_f32 v141, v152, 0xbf7ba420, v140
	v_fma_f32 v140, 0xbf7ba420, v152, -v140
	v_mul_f32_e32 v137, 0xbf2c7751, v147
	v_dual_mul_f32 v61, 0x3ee437d1, v61 :: v_dual_add_f32 v140, v140, v144
	s_delay_alu instid0(VALU_DEP_2) | instskip(SKIP_1) | instid1(VALU_DEP_2)
	v_fmamk_f32 v138, v152, 0x3f3d2fb0, v137
	v_fma_f32 v137, 0x3f3d2fb0, v152, -v137
	v_add_f32_e32 v122, v138, v122
	v_fmamk_f32 v138, v60, 0x3f2c7751, v139
	s_delay_alu instid0(VALU_DEP_1) | instskip(NEXT) | instid1(VALU_DEP_1)
	v_dual_fmac_f32 v139, 0xbf2c7751, v60 :: v_dual_add_f32 v138, v138, v142
	v_add_f32_e32 v121, v139, v121
	v_add_f32_e32 v139, v141, v143
	v_fmamk_f32 v141, v60, 0x3e3c28d5, v149
	v_mul_f32_e32 v142, 0x3f65296c, v147
	v_fmac_f32_e32 v149, 0xbe3c28d5, v60
	s_delay_alu instid0(VALU_DEP_3)
	v_dual_add_f32 v141, v141, v146 :: v_dual_sub_f32 v146, v63, v65
	v_add_f32_e32 v63, v65, v63
	v_add_f32_e32 v137, v137, v145
	v_fmamk_f32 v145, v60, 0xbf65296c, v61
	v_fmac_f32_e32 v61, 0x3f65296c, v60
	v_dual_mul_f32 v65, 0xbf06c442, v146 :: v_dual_sub_f32 v60, v62, v64
	s_delay_alu instid0(VALU_DEP_3) | instskip(SKIP_1) | instid1(VALU_DEP_4)
	v_add_f32_e32 v73, v145, v73
	v_dual_add_f32 v145, v64, v62 :: v_dual_mul_f32 v62, 0xbf59a7d5, v63
	v_add_f32_e32 v61, v61, v71
	v_mul_f32_e32 v71, 0x3f65296c, v146
	v_fmamk_f32 v143, v152, 0x3ee437d1, v142
	v_fma_f32 v142, 0x3ee437d1, v152, -v142
	v_fmamk_f32 v64, v145, 0xbf59a7d5, v65
	v_fma_f32 v65, 0xbf59a7d5, v145, -v65
	s_delay_alu instid0(VALU_DEP_3) | instskip(SKIP_1) | instid1(VALU_DEP_4)
	v_dual_add_f32 v67, v142, v67 :: v_dual_fmamk_f32 v142, v60, 0x3f06c442, v62
	v_fmac_f32_e32 v62, 0xbf06c442, v60
	v_add_f32_e32 v64, v64, v66
	v_dual_fmamk_f32 v66, v145, 0x3ee437d1, v71 :: v_dual_add_f32 v143, v143, v150
	s_delay_alu instid0(VALU_DEP_4) | instskip(SKIP_4) | instid1(VALU_DEP_4)
	v_add_f32_e32 v80, v142, v80
	v_mul_f32_e32 v142, 0x3ee437d1, v63
	v_add_f32_e32 v62, v62, v70
	v_mul_f32_e32 v70, 0xbf7ee86f, v146
	v_dual_add_f32 v65, v65, v82 :: v_dual_add_f32 v66, v66, v83
	v_fmamk_f32 v82, v60, 0xbf65296c, v142
	v_fmac_f32_e32 v142, 0x3f65296c, v60
	s_delay_alu instid0(VALU_DEP_4) | instskip(SKIP_3) | instid1(VALU_DEP_3)
	v_fmamk_f32 v147, v145, 0x3dbcf732, v70
	v_fma_f32 v70, 0x3dbcf732, v145, -v70
	v_add_f32_e32 v144, v149, v148
	v_add_f32_e32 v72, v82, v72
	;; [unrolled: 1-line block ×3, first 2 shown]
	v_fma_f32 v71, 0x3ee437d1, v145, -v71
	s_delay_alu instid0(VALU_DEP_1) | instskip(SKIP_2) | instid1(VALU_DEP_1)
	v_add_f32_e32 v71, v71, v81
	v_add_f32_e32 v81, v142, v126
	v_mul_f32_e32 v126, 0x3f4c4adb, v146
	v_fmamk_f32 v142, v145, 0xbf1a4643, v126
	v_fma_f32 v126, 0xbf1a4643, v145, -v126
	v_mul_f32_e32 v83, 0x3dbcf732, v63
	s_delay_alu instid0(VALU_DEP_3) | instskip(NEXT) | instid1(VALU_DEP_3)
	v_add_f32_e32 v77, v142, v77
	v_add_f32_e32 v78, v126, v78
	s_delay_alu instid0(VALU_DEP_3) | instskip(SKIP_2) | instid1(VALU_DEP_2)
	v_fmamk_f32 v82, v60, 0x3f7ee86f, v83
	v_fmac_f32_e32 v83, 0xbf7ee86f, v60
	v_mul_f32_e32 v126, 0xbe3c28d5, v146
	v_dual_add_f32 v76, v83, v76 :: v_dual_mul_f32 v83, 0xbeb8f4ab, v146
	s_delay_alu instid0(VALU_DEP_4) | instskip(SKIP_1) | instid1(VALU_DEP_4)
	v_add_f32_e32 v75, v82, v75
	v_mul_f32_e32 v82, 0xbf1a4643, v63
	v_dual_add_f32 v74, v147, v74 :: v_dual_fmamk_f32 v147, v145, 0xbf7ba420, v126
	s_delay_alu instid0(VALU_DEP_4) | instskip(NEXT) | instid1(VALU_DEP_3)
	v_fmamk_f32 v142, v145, 0x3f6eb680, v83
	v_fmamk_f32 v127, v60, 0xbf4c4adb, v82
	v_fmac_f32_e32 v82, 0x3f4c4adb, v60
	s_delay_alu instid0(VALU_DEP_4) | instskip(NEXT) | instid1(VALU_DEP_3)
	v_add_f32_e32 v122, v147, v122
	v_dual_add_f32 v127, v127, v128 :: v_dual_mul_f32 v128, 0x3f6eb680, v63
	s_delay_alu instid0(VALU_DEP_3) | instskip(SKIP_4) | instid1(VALU_DEP_3)
	v_add_f32_e32 v79, v82, v79
	v_add_f32_e32 v82, v142, v136
	v_fma_f32 v83, 0x3f6eb680, v145, -v83
	v_mul_f32_e32 v142, 0xbf7ba420, v63
	v_fmamk_f32 v136, v60, 0x3eb8f4ab, v128
	v_dual_fmac_f32 v128, 0xbeb8f4ab, v60 :: v_dual_add_f32 v83, v83, v131
	v_fma_f32 v126, 0xbf7ba420, v145, -v126
	s_delay_alu instid0(VALU_DEP_4) | instskip(NEXT) | instid1(VALU_DEP_3)
	v_fmamk_f32 v131, v60, 0x3e3c28d5, v142
	v_dual_add_f32 v128, v128, v135 :: v_dual_mul_f32 v135, 0x3f2c7751, v146
	v_add_f32_e32 v132, v136, v132
	s_delay_alu instid0(VALU_DEP_3) | instskip(SKIP_1) | instid1(VALU_DEP_4)
	v_dual_add_f32 v126, v126, v137 :: v_dual_add_f32 v131, v131, v138
	v_mul_f32_e32 v137, 0xbf763a35, v146
	v_fmamk_f32 v138, v145, 0x3f3d2fb0, v135
	s_delay_alu instid0(VALU_DEP_1) | instskip(SKIP_2) | instid1(VALU_DEP_3)
	v_dual_add_f32 v138, v138, v139 :: v_dual_fmamk_f32 v139, v145, 0xbe8c1d8e, v137
	v_fmac_f32_e32 v142, 0xbe3c28d5, v60
	v_fma_f32 v135, 0x3f3d2fb0, v145, -v135
	v_add_f32_e32 v139, v139, v143
	s_delay_alu instid0(VALU_DEP_3) | instskip(SKIP_1) | instid1(VALU_DEP_4)
	v_dual_mul_f32 v136, 0x3f3d2fb0, v63 :: v_dual_add_f32 v121, v142, v121
	v_mul_f32_e32 v63, 0xbe8c1d8e, v63
	v_add_f32_e32 v135, v135, v140
	s_delay_alu instid0(VALU_DEP_3) | instskip(NEXT) | instid1(VALU_DEP_1)
	v_dual_add_f32 v143, v59, v57 :: v_dual_fmamk_f32 v142, v60, 0xbf2c7751, v136
	v_dual_fmac_f32 v136, 0x3f2c7751, v60 :: v_dual_add_f32 v141, v142, v141
	s_delay_alu instid0(VALU_DEP_1) | instskip(SKIP_3) | instid1(VALU_DEP_2)
	v_add_f32_e32 v136, v136, v144
	v_fma_f32 v137, 0xbe8c1d8e, v145, -v137
	v_fmamk_f32 v142, v60, 0x3f763a35, v63
	v_dual_add_f32 v144, v58, v56 :: v_dual_sub_f32 v145, v56, v58
	v_dual_add_f32 v137, v137, v67 :: v_dual_add_f32 v142, v142, v73
	v_dual_sub_f32 v140, v57, v59 :: v_dual_fmac_f32 v63, 0xbf763a35, v60
	v_mul_f32_e32 v67, 0xbf59a7d5, v143
	s_delay_alu instid0(VALU_DEP_2) | instskip(NEXT) | instid1(VALU_DEP_1)
	v_dual_mul_f32 v57, 0xbe3c28d5, v140 :: v_dual_add_f32 v146, v63, v61
	v_dual_mul_f32 v59, 0xbf7ba420, v143 :: v_dual_fmamk_f32 v56, v144, 0xbf7ba420, v57
	v_fma_f32 v60, 0xbf7ba420, v144, -v57
	v_mul_f32_e32 v61, 0x3eb8f4ab, v140
	s_delay_alu instid0(VALU_DEP_3) | instskip(SKIP_3) | instid1(VALU_DEP_1)
	v_add_f32_e32 v56, v56, v64
	v_mul_f32_e32 v64, 0x3f6eb680, v143
	v_fmamk_f32 v58, v145, 0x3e3c28d5, v59
	v_fmac_f32_e32 v59, 0xbe3c28d5, v145
	v_add_f32_e32 v59, v59, v62
	s_delay_alu instid0(VALU_DEP_3) | instskip(SKIP_3) | instid1(VALU_DEP_3)
	v_dual_add_f32 v57, v58, v80 :: v_dual_add_f32 v58, v60, v65
	v_fmamk_f32 v63, v144, 0x3f6eb680, v61
	v_fmamk_f32 v62, v145, 0xbeb8f4ab, v64
	v_fmac_f32_e32 v64, 0x3eb8f4ab, v145
	v_add_f32_e32 v60, v63, v66
	v_fma_f32 v63, 0x3f6eb680, v144, -v61
	s_delay_alu instid0(VALU_DEP_4) | instskip(NEXT) | instid1(VALU_DEP_2)
	v_add_f32_e32 v61, v62, v72
	v_dual_mul_f32 v65, 0xbf06c442, v140 :: v_dual_add_f32 v62, v63, v71
	v_add_f32_e32 v63, v64, v81
	s_delay_alu instid0(VALU_DEP_2) | instskip(SKIP_1) | instid1(VALU_DEP_2)
	v_fmamk_f32 v66, v144, 0xbf59a7d5, v65
	v_fma_f32 v72, 0xbf59a7d5, v144, -v65
	v_dual_mul_f32 v71, 0x3f2c7751, v140 :: v_dual_add_f32 v64, v66, v74
	v_fmamk_f32 v66, v145, 0x3f06c442, v67
	v_fmac_f32_e32 v67, 0xbf06c442, v145
	s_delay_alu instid0(VALU_DEP_1) | instskip(NEXT) | instid1(VALU_DEP_3)
	v_add_f32_e32 v67, v67, v76
	v_dual_add_f32 v65, v66, v75 :: v_dual_add_f32 v66, v72, v70
	v_dual_mul_f32 v73, 0x3f3d2fb0, v143 :: v_dual_fmamk_f32 v74, v144, 0x3f3d2fb0, v71
	v_mul_f32_e32 v75, 0xbf4c4adb, v140
	s_delay_alu instid0(VALU_DEP_2) | instskip(NEXT) | instid1(VALU_DEP_3)
	v_fmamk_f32 v72, v145, 0xbf2c7751, v73
	v_add_f32_e32 v70, v74, v77
	v_fma_f32 v74, 0x3f3d2fb0, v144, -v71
	s_delay_alu instid0(VALU_DEP_4) | instskip(SKIP_1) | instid1(VALU_DEP_3)
	v_dual_fmamk_f32 v76, v144, 0xbf1a4643, v75 :: v_dual_mul_f32 v77, 0xbf1a4643, v143
	v_fmac_f32_e32 v73, 0x3f2c7751, v145
	v_dual_add_f32 v71, v72, v127 :: v_dual_add_f32 v72, v74, v78
	s_delay_alu instid0(VALU_DEP_3) | instskip(NEXT) | instid1(VALU_DEP_4)
	v_add_f32_e32 v74, v76, v82
	v_fmamk_f32 v76, v145, 0x3f4c4adb, v77
	s_delay_alu instid0(VALU_DEP_4) | instskip(SKIP_2) | instid1(VALU_DEP_2)
	v_add_f32_e32 v73, v73, v79
	v_fma_f32 v78, 0xbf1a4643, v144, -v75
	v_mul_f32_e32 v79, 0x3f65296c, v140
	v_dual_add_f32 v75, v76, v132 :: v_dual_add_f32 v76, v78, v83
	s_delay_alu instid0(VALU_DEP_2) | instskip(SKIP_2) | instid1(VALU_DEP_3)
	v_fmamk_f32 v80, v144, 0x3ee437d1, v79
	v_fmac_f32_e32 v77, 0xbf4c4adb, v145
	v_fma_f32 v83, 0x3ee437d1, v144, -v79
	v_dual_mul_f32 v81, 0x3ee437d1, v143 :: v_dual_add_f32 v78, v80, v122
	s_delay_alu instid0(VALU_DEP_3) | instskip(NEXT) | instid1(VALU_DEP_2)
	v_dual_add_f32 v77, v77, v128 :: v_dual_mul_f32 v122, 0xbe8c1d8e, v143
	v_fmamk_f32 v80, v145, 0xbf65296c, v81
	s_delay_alu instid0(VALU_DEP_1) | instskip(NEXT) | instid1(VALU_DEP_3)
	v_dual_mul_f32 v82, 0xbf763a35, v140 :: v_dual_add_f32 v79, v80, v131
	v_dual_add_f32 v80, v83, v126 :: v_dual_fmamk_f32 v83, v145, 0x3f763a35, v122
	v_fmac_f32_e32 v122, 0xbf763a35, v145
	s_delay_alu instid0(VALU_DEP_3) | instskip(SKIP_1) | instid1(VALU_DEP_3)
	v_fmamk_f32 v127, v144, 0xbe8c1d8e, v82
	v_mul_f32_e32 v126, 0x3f7ee86f, v140
	v_dual_add_f32 v122, v122, v136 :: v_dual_fmac_f32 v81, 0x3f65296c, v145
	s_delay_alu instid0(VALU_DEP_2) | instskip(NEXT) | instid1(VALU_DEP_2)
	v_fma_f32 v132, 0x3dbcf732, v144, -v126
	v_add_f32_e32 v81, v81, v121
	v_fma_f32 v121, 0xbe8c1d8e, v144, -v82
	v_dual_add_f32 v82, v127, v138 :: v_dual_fmamk_f32 v127, v144, 0x3dbcf732, v126
	s_delay_alu instid0(VALU_DEP_1) | instskip(SKIP_1) | instid1(VALU_DEP_4)
	v_add_f32_e32 v126, v127, v139
	v_dual_mul_f32 v128, 0x3dbcf732, v143 :: v_dual_add_f32 v83, v83, v141
	v_add_f32_e32 v121, v121, v135
	s_delay_alu instid0(VALU_DEP_2) | instskip(NEXT) | instid1(VALU_DEP_1)
	v_fmamk_f32 v131, v145, 0xbf7ee86f, v128
	v_dual_fmac_f32 v128, 0x3f7ee86f, v145 :: v_dual_add_f32 v127, v131, v142
	v_add_f32_e32 v131, v132, v137
	s_delay_alu instid0(VALU_DEP_2)
	v_add_f32_e32 v132, v128, v146
	ds_store_2addr_b64 v134, v[68:69], v[56:57] offset1:1
	ds_store_2addr_b64 v134, v[60:61], v[64:65] offset0:2 offset1:3
	ds_store_2addr_b64 v134, v[70:71], v[74:75] offset0:4 offset1:5
	;; [unrolled: 1-line block ×7, first 2 shown]
	ds_store_b64 v134, v[58:59] offset:128
	global_wb scope:SCOPE_SE
	s_wait_dscnt 0x0
	s_barrier_signal -1
	s_barrier_wait -1
	global_inv scope:SCOPE_SE
	ds_load_2addr_b64 v[56:59], v129 offset1:51
	ds_load_2addr_b64 v[60:63], v129 offset0:102 offset1:153
	ds_load_2addr_b64 v[64:67], v129 offset0:204 offset1:255
	;; [unrolled: 1-line block ×7, first 2 shown]
	ds_load_b64 v[121:122], v129 offset:6528
	global_wb scope:SCOPE_SE
	s_wait_dscnt 0x0
	s_barrier_signal -1
	s_barrier_wait -1
	global_inv scope:SCOPE_SE
	v_mul_f32_e32 v131, v33, v59
	v_mul_f32_e32 v33, v33, v58
	s_delay_alu instid0(VALU_DEP_2) | instskip(SKIP_1) | instid1(VALU_DEP_3)
	v_dual_fmac_f32 v131, v32, v58 :: v_dual_mul_f32 v58, v35, v61
	v_mul_f32_e32 v35, v35, v60
	v_fma_f32 v33, v32, v59, -v33
	v_mul_f32_e32 v59, v29, v63
	s_delay_alu instid0(VALU_DEP_4) | instskip(NEXT) | instid1(VALU_DEP_4)
	v_dual_mul_f32 v29, v29, v62 :: v_dual_fmac_f32 v58, v34, v60
	v_fma_f32 v34, v34, v61, -v35
	s_delay_alu instid0(VALU_DEP_3) | instskip(SKIP_1) | instid1(VALU_DEP_4)
	v_dual_mul_f32 v32, v31, v65 :: v_dual_fmac_f32 v59, v28, v62
	v_dual_add_f32 v60, v57, v33 :: v_dual_mul_f32 v31, v31, v64
	v_fma_f32 v35, v28, v63, -v29
	s_delay_alu instid0(VALU_DEP_3) | instskip(NEXT) | instid1(VALU_DEP_3)
	v_dual_mul_f32 v29, v25, v67 :: v_dual_fmac_f32 v32, v30, v64
	v_add_f32_e32 v60, v60, v34
	v_mul_f32_e32 v28, v27, v69
	v_fma_f32 v30, v30, v65, -v31
	v_mul_f32_e32 v31, v27, v68
	s_delay_alu instid0(VALU_DEP_4) | instskip(NEXT) | instid1(VALU_DEP_4)
	v_dual_mul_f32 v25, v25, v66 :: v_dual_add_f32 v60, v60, v35
	v_dual_fmac_f32 v28, v26, v68 :: v_dual_fmac_f32 v29, v24, v66
	s_delay_alu instid0(VALU_DEP_3) | instskip(SKIP_1) | instid1(VALU_DEP_4)
	v_fma_f32 v26, v26, v69, -v31
	v_add_f32_e32 v31, v56, v131
	v_fma_f32 v27, v24, v67, -v25
	v_mul_f32_e32 v24, v9, v71
	v_add_f32_e32 v60, v60, v30
	v_mul_f32_e32 v9, v9, v70
	v_add_f32_e32 v31, v31, v58
	v_mul_f32_e32 v61, v13, v82
	v_fmac_f32_e32 v24, v8, v70
	v_add_f32_e32 v60, v60, v27
	v_fma_f32 v25, v8, v71, -v9
	v_add_f32_e32 v31, v31, v59
	v_mul_f32_e32 v8, v11, v73
	v_mul_f32_e32 v11, v11, v72
	s_delay_alu instid0(VALU_DEP_2) | instskip(NEXT) | instid1(VALU_DEP_2)
	v_dual_mul_f32 v9, v21, v75 :: v_dual_fmac_f32 v8, v10, v72
	v_fma_f32 v10, v10, v73, -v11
	v_mul_f32_e32 v11, v21, v74
	v_mul_f32_e32 v21, v23, v77
	;; [unrolled: 1-line block ×3, first 2 shown]
	s_delay_alu instid0(VALU_DEP_3) | instskip(NEXT) | instid1(VALU_DEP_3)
	v_fma_f32 v11, v20, v75, -v11
	v_fmac_f32_e32 v21, v22, v76
	v_fmac_f32_e32 v9, v20, v74
	s_delay_alu instid0(VALU_DEP_4) | instskip(SKIP_1) | instid1(VALU_DEP_1)
	v_fma_f32 v20, v22, v77, -v23
	v_mul_f32_e32 v22, v17, v79
	v_dual_fmac_f32 v22, v16, v78 :: v_dual_add_f32 v31, v31, v32
	s_delay_alu instid0(VALU_DEP_1) | instskip(NEXT) | instid1(VALU_DEP_1)
	v_add_f32_e32 v31, v31, v29
	v_add_f32_e32 v23, v31, v28
	;; [unrolled: 1-line block ×3, first 2 shown]
	v_dual_mul_f32 v60, v17, v78 :: v_dual_mul_f32 v17, v19, v81
	v_mul_f32_e32 v19, v19, v80
	s_delay_alu instid0(VALU_DEP_4) | instskip(NEXT) | instid1(VALU_DEP_3)
	v_add_f32_e32 v23, v23, v24
	v_fma_f32 v16, v16, v79, -v60
	s_delay_alu instid0(VALU_DEP_4) | instskip(NEXT) | instid1(VALU_DEP_3)
	v_dual_fmac_f32 v17, v18, v80 :: v_dual_mul_f32 v60, v13, v83
	v_add_f32_e32 v23, v23, v8
	v_fma_f32 v13, v18, v81, -v19
	s_delay_alu instid0(VALU_DEP_3) | instskip(NEXT) | instid1(VALU_DEP_3)
	v_fmac_f32_e32 v60, v12, v82
	v_add_f32_e32 v18, v23, v9
	v_mul_f32_e32 v23, v15, v126
	v_mul_f32_e32 v15, v15, v125
	v_fma_f32 v12, v12, v83, -v61
	s_delay_alu instid0(VALU_DEP_4) | instskip(NEXT) | instid1(VALU_DEP_4)
	v_add_f32_e32 v18, v18, v21
	v_fmac_f32_e32 v23, v14, v125
	s_delay_alu instid0(VALU_DEP_4) | instskip(NEXT) | instid1(VALU_DEP_3)
	v_fma_f32 v14, v14, v126, -v15
	v_dual_mul_f32 v15, v7, v121 :: v_dual_add_f32 v18, v18, v22
	s_delay_alu instid0(VALU_DEP_1) | instskip(NEXT) | instid1(VALU_DEP_1)
	v_fma_f32 v15, v6, v122, -v15
	v_sub_f32_e32 v61, v33, v15
	s_delay_alu instid0(VALU_DEP_1) | instskip(SKIP_2) | instid1(VALU_DEP_2)
	v_mul_f32_e32 v79, 0xbf4c4adb, v61
	v_mul_f32_e32 v7, v7, v122
	v_mul_f32_e32 v67, 0xbf65296c, v61
	v_fmac_f32_e32 v7, v6, v121
	s_delay_alu instid0(VALU_DEP_1) | instskip(SKIP_1) | instid1(VALU_DEP_1)
	v_sub_f32_e32 v62, v131, v7
	v_add_f32_e32 v31, v31, v25
	v_add_f32_e32 v31, v31, v10
	s_delay_alu instid0(VALU_DEP_1) | instskip(SKIP_2) | instid1(VALU_DEP_3)
	v_add_f32_e32 v19, v31, v11
	v_mul_f32_e32 v31, v5, v128
	v_mul_f32_e32 v5, v5, v127
	v_add_f32_e32 v19, v19, v20
	s_delay_alu instid0(VALU_DEP_2) | instskip(NEXT) | instid1(VALU_DEP_1)
	v_fma_f32 v6, v4, v128, -v5
	v_dual_add_f32 v19, v19, v16 :: v_dual_sub_f32 v128, v34, v6
	s_delay_alu instid0(VALU_DEP_1) | instskip(NEXT) | instid1(VALU_DEP_1)
	v_add_f32_e32 v19, v19, v13
	v_add_f32_e32 v19, v19, v12
	s_delay_alu instid0(VALU_DEP_1) | instskip(SKIP_1) | instid1(VALU_DEP_1)
	v_add_f32_e32 v5, v19, v14
	v_add_f32_e32 v19, v33, v15
	v_mul_f32_e32 v122, 0xbf59a7d5, v19
	s_delay_alu instid0(VALU_DEP_1) | instskip(SKIP_3) | instid1(VALU_DEP_4)
	v_fmamk_f32 v126, v62, 0x3f06c442, v122
	v_mul_f32_e32 v78, 0xbe8c1d8e, v19
	v_mul_f32_e32 v66, 0x3f3d2fb0, v19
	v_dual_add_f32 v18, v18, v17 :: v_dual_mul_f32 v81, 0xbf1a4643, v19
	v_add_f32_e32 v126, v57, v126
	s_delay_alu instid0(VALU_DEP_4) | instskip(SKIP_1) | instid1(VALU_DEP_4)
	v_fmamk_f32 v80, v62, 0x3f763a35, v78
	v_fmac_f32_e32 v78, 0xbf763a35, v62
	v_add_f32_e32 v18, v18, v60
	v_fmac_f32_e32 v122, 0xbf06c442, v62
	s_delay_alu instid0(VALU_DEP_4) | instskip(NEXT) | instid1(VALU_DEP_4)
	v_dual_mul_f32 v63, 0x3f6eb680, v19 :: v_dual_add_f32 v80, v57, v80
	v_dual_mul_f32 v73, 0x3dbcf732, v19 :: v_dual_add_f32 v78, v57, v78
	v_fmamk_f32 v68, v62, 0x3f2c7751, v66
	v_fmac_f32_e32 v66, 0xbf2c7751, v62
	v_add_f32_e32 v122, v57, v122
	s_delay_alu instid0(VALU_DEP_4)
	v_fmamk_f32 v76, v62, 0x3f7ee86f, v73
	v_fmac_f32_e32 v31, v4, v127
	v_add_f32_e32 v4, v18, v23
	v_add_f32_e32 v18, v131, v7
	;; [unrolled: 1-line block ×4, first 2 shown]
	s_delay_alu instid0(VALU_DEP_4) | instskip(NEXT) | instid1(VALU_DEP_4)
	v_dual_add_f32 v5, v5, v6 :: v_dual_add_f32 v4, v4, v31
	v_fmamk_f32 v82, v18, 0xbf1a4643, v79
	v_add_f32_e32 v6, v34, v6
	v_add_f32_e32 v34, v58, v31
	s_delay_alu instid0(VALU_DEP_4)
	v_add_f32_e32 v5, v5, v15
	v_add_f32_e32 v4, v4, v7
	v_dual_add_f32 v82, v56, v82 :: v_dual_mul_f32 v33, 0xbeb8f4ab, v61
	v_mul_f32_e32 v7, 0xbf2c7751, v61
	v_dual_mul_f32 v72, 0xbf7ee86f, v61 :: v_dual_sub_f32 v31, v58, v31
	v_mul_f32_e32 v58, 0x3f3d2fb0, v6
	s_delay_alu instid0(VALU_DEP_4)
	v_fmamk_f32 v64, v18, 0x3f6eb680, v33
	v_fma_f32 v33, 0x3f6eb680, v18, -v33
	v_fmamk_f32 v65, v18, 0x3f3d2fb0, v7
	v_fmamk_f32 v74, v18, 0x3dbcf732, v72
	v_mul_f32_e32 v75, 0xbf763a35, v61
	v_fma_f32 v72, 0x3dbcf732, v18, -v72
	v_add_f32_e32 v33, v56, v33
	v_add_f32_e32 v65, v56, v65
	v_mul_f32_e32 v69, 0x3ee437d1, v19
	v_mul_f32_e32 v19, 0xbf7ba420, v19
	;; [unrolled: 1-line block ×3, first 2 shown]
	v_fma_f32 v79, 0xbf1a4643, v18, -v79
	v_mul_f32_e32 v61, 0xbe3c28d5, v61
	v_fma_f32 v7, 0x3f3d2fb0, v18, -v7
	v_fmamk_f32 v131, v62, 0x3e3c28d5, v19
	v_fmac_f32_e32 v19, 0xbe3c28d5, v62
	v_fmamk_f32 v70, v18, 0x3ee437d1, v67
	v_fma_f32 v67, 0x3ee437d1, v18, -v67
	v_dual_add_f32 v74, v56, v74 :: v_dual_fmamk_f32 v77, v18, 0xbe8c1d8e, v75
	v_dual_add_f32 v72, v56, v72 :: v_dual_fmamk_f32 v71, v62, 0x3f65296c, v69
	v_fma_f32 v75, 0xbe8c1d8e, v18, -v75
	v_fmamk_f32 v125, v18, 0xbf59a7d5, v121
	v_add_f32_e32 v79, v56, v79
	v_fmamk_f32 v83, v62, 0x3f4c4adb, v81
	v_fma_f32 v121, 0xbf59a7d5, v18, -v121
	v_fmamk_f32 v127, v18, 0xbf7ba420, v61
	v_fma_f32 v18, 0xbf7ba420, v18, -v61
	v_add_f32_e32 v19, v57, v19
	v_mul_f32_e32 v61, 0xbf2c7751, v128
	v_dual_fmamk_f32 v15, v62, 0x3eb8f4ab, v63 :: v_dual_add_f32 v64, v56, v64
	v_fmac_f32_e32 v63, 0xbeb8f4ab, v62
	v_dual_add_f32 v71, v57, v71 :: v_dual_mul_f32 v132, 0xbf1a4643, v6
	v_fmac_f32_e32 v69, 0xbf65296c, v62
	v_add_f32_e32 v83, v57, v83
	v_fmac_f32_e32 v73, 0xbf7ee86f, v62
	v_add_f32_e32 v121, v56, v121
	v_dual_fmac_f32 v81, 0xbf4c4adb, v62 :: v_dual_add_f32 v62, v57, v131
	v_fmamk_f32 v131, v34, 0x3f3d2fb0, v61
	v_dual_add_f32 v15, v57, v15 :: v_dual_add_f32 v18, v56, v18
	v_add_f32_e32 v66, v57, v66
	v_add_f32_e32 v70, v56, v70
	;; [unrolled: 1-line block ×9, first 2 shown]
	v_dual_add_f32 v127, v56, v127 :: v_dual_add_f32 v64, v131, v64
	v_add_f32_e32 v63, v57, v63
	v_mul_f32_e32 v57, 0xbf7ee86f, v128
	v_dual_add_f32 v7, v56, v7 :: v_dual_fmamk_f32 v56, v31, 0x3f2c7751, v58
	v_fma_f32 v61, 0x3f3d2fb0, v34, -v61
	v_fmac_f32_e32 v58, 0xbf2c7751, v31
	v_mul_f32_e32 v131, 0x3dbcf732, v6
	s_delay_alu instid0(VALU_DEP_4) | instskip(NEXT) | instid1(VALU_DEP_3)
	v_dual_add_f32 v15, v56, v15 :: v_dual_fmamk_f32 v56, v34, 0x3dbcf732, v57
	v_dual_add_f32 v33, v61, v33 :: v_dual_add_f32 v58, v58, v63
	v_mul_f32_e32 v61, 0xbf4c4adb, v128
	s_delay_alu instid0(VALU_DEP_4) | instskip(SKIP_2) | instid1(VALU_DEP_4)
	v_fmamk_f32 v63, v31, 0x3f7ee86f, v131
	v_fma_f32 v57, 0x3dbcf732, v34, -v57
	v_dual_fmac_f32 v131, 0xbf7ee86f, v31 :: v_dual_add_f32 v56, v56, v65
	v_fmamk_f32 v65, v34, 0xbf1a4643, v61
	s_delay_alu instid0(VALU_DEP_4) | instskip(NEXT) | instid1(VALU_DEP_4)
	v_add_f32_e32 v63, v63, v68
	v_add_f32_e32 v7, v57, v7
	s_delay_alu instid0(VALU_DEP_4)
	v_add_f32_e32 v57, v131, v66
	v_fmamk_f32 v66, v31, 0x3f4c4adb, v132
	v_dual_mul_f32 v68, 0xbe3c28d5, v128 :: v_dual_add_f32 v65, v65, v70
	v_fma_f32 v61, 0xbf1a4643, v34, -v61
	v_fmac_f32_e32 v132, 0xbf4c4adb, v31
	v_mul_f32_e32 v70, 0xbf7ba420, v6
	v_add_f32_e32 v66, v66, v71
	v_fmamk_f32 v71, v34, 0xbf7ba420, v68
	v_mul_f32_e32 v131, 0x3f06c442, v128
	v_fma_f32 v68, 0xbf7ba420, v34, -v68
	v_add_f32_e32 v61, v61, v67
	v_add_f32_e32 v67, v132, v69
	v_fmamk_f32 v69, v31, 0x3e3c28d5, v70
	v_dual_add_f32 v71, v71, v74 :: v_dual_fmac_f32 v70, 0xbe3c28d5, v31
	v_fmamk_f32 v74, v34, 0xbf59a7d5, v131
	v_add_f32_e32 v68, v68, v72
	v_mul_f32_e32 v72, 0x3f763a35, v128
	v_mul_f32_e32 v132, 0xbe8c1d8e, v6
	v_add_f32_e32 v70, v70, v73
	v_add_f32_e32 v73, v74, v77
	v_fma_f32 v77, 0xbf59a7d5, v34, -v131
	v_fmamk_f32 v131, v34, 0xbe8c1d8e, v72
	v_fma_f32 v72, 0xbe8c1d8e, v34, -v72
	s_delay_alu instid0(VALU_DEP_3) | instskip(NEXT) | instid1(VALU_DEP_3)
	v_add_f32_e32 v75, v77, v75
	v_add_f32_e32 v77, v131, v82
	v_mul_f32_e32 v82, 0x3ee437d1, v6
	s_delay_alu instid0(VALU_DEP_1) | instskip(NEXT) | instid1(VALU_DEP_1)
	v_dual_add_f32 v72, v72, v79 :: v_dual_fmamk_f32 v79, v31, 0xbf65296c, v82
	v_dual_fmac_f32 v82, 0x3f65296c, v31 :: v_dual_add_f32 v79, v79, v126
	v_add_f32_e32 v126, v59, v23
	v_sub_f32_e32 v23, v59, v23
	v_dual_add_f32 v69, v69, v76 :: v_dual_mul_f32 v76, 0xbf59a7d5, v6
	s_delay_alu instid0(VALU_DEP_4) | instskip(SKIP_1) | instid1(VALU_DEP_3)
	v_add_f32_e32 v82, v82, v122
	v_mul_f32_e32 v6, 0x3f6eb680, v6
	v_fmamk_f32 v74, v31, 0xbf06c442, v76
	v_fmac_f32_e32 v76, 0x3f06c442, v31
	s_delay_alu instid0(VALU_DEP_2) | instskip(NEXT) | instid1(VALU_DEP_2)
	v_add_f32_e32 v74, v74, v80
	v_add_f32_e32 v76, v76, v78
	v_fmamk_f32 v78, v31, 0xbf763a35, v132
	v_mul_f32_e32 v80, 0x3f65296c, v128
	v_mul_f32_e32 v128, 0x3eb8f4ab, v128
	v_fmac_f32_e32 v132, 0x3f763a35, v31
	s_delay_alu instid0(VALU_DEP_4) | instskip(NEXT) | instid1(VALU_DEP_4)
	v_add_f32_e32 v78, v78, v83
	v_fmamk_f32 v83, v34, 0x3ee437d1, v80
	v_fma_f32 v80, 0x3ee437d1, v34, -v80
	s_delay_alu instid0(VALU_DEP_2) | instskip(SKIP_2) | instid1(VALU_DEP_4)
	v_add_f32_e32 v83, v83, v125
	v_fmamk_f32 v125, v34, 0x3f6eb680, v128
	v_fma_f32 v34, 0x3f6eb680, v34, -v128
	v_dual_add_f32 v80, v80, v121 :: v_dual_sub_f32 v121, v35, v14
	v_add_f32_e32 v14, v35, v14
	s_delay_alu instid0(VALU_DEP_4) | instskip(NEXT) | instid1(VALU_DEP_4)
	v_add_f32_e32 v122, v125, v127
	v_dual_add_f32 v18, v34, v18 :: v_dual_fmamk_f32 v125, v31, 0xbeb8f4ab, v6
	v_fmac_f32_e32 v6, 0x3eb8f4ab, v31
	v_mul_f32_e32 v34, 0xbf4c4adb, v121
	v_add_f32_e32 v81, v132, v81
	s_delay_alu instid0(VALU_DEP_3) | instskip(SKIP_2) | instid1(VALU_DEP_2)
	v_dual_add_f32 v59, v125, v62 :: v_dual_add_f32 v6, v6, v19
	v_mul_f32_e32 v127, 0xbf65296c, v121
	v_mul_f32_e32 v125, 0xbe8c1d8e, v14
	v_fma_f32 v62, 0x3ee437d1, v126, -v127
	v_fmamk_f32 v31, v126, 0x3ee437d1, v127
	s_delay_alu instid0(VALU_DEP_2) | instskip(SKIP_1) | instid1(VALU_DEP_3)
	v_add_f32_e32 v33, v62, v33
	v_mul_f32_e32 v35, 0x3ee437d1, v14
	v_dual_add_f32 v19, v31, v64 :: v_dual_mul_f32 v64, 0xbf1a4643, v14
	v_mul_f32_e32 v62, 0x3e3c28d5, v121
	s_delay_alu instid0(VALU_DEP_3) | instskip(SKIP_1) | instid1(VALU_DEP_2)
	v_fmamk_f32 v31, v23, 0x3f65296c, v35
	v_fmac_f32_e32 v35, 0xbf65296c, v23
	v_add_f32_e32 v15, v31, v15
	v_fmamk_f32 v31, v126, 0xbf1a4643, v34
	s_delay_alu instid0(VALU_DEP_3) | instskip(SKIP_2) | instid1(VALU_DEP_4)
	v_add_f32_e32 v35, v35, v58
	v_fmamk_f32 v58, v23, 0x3f4c4adb, v64
	v_fma_f32 v34, 0xbf1a4643, v126, -v34
	v_dual_fmac_f32 v64, 0xbf4c4adb, v23 :: v_dual_add_f32 v31, v31, v56
	s_delay_alu instid0(VALU_DEP_3) | instskip(SKIP_1) | instid1(VALU_DEP_3)
	v_add_f32_e32 v56, v58, v63
	v_dual_fmamk_f32 v58, v126, 0xbf7ba420, v62 :: v_dual_mul_f32 v63, 0xbf7ba420, v14
	v_dual_add_f32 v7, v34, v7 :: v_dual_add_f32 v34, v64, v57
	v_mul_f32_e32 v57, 0x3f763a35, v121
	s_delay_alu instid0(VALU_DEP_3) | instskip(NEXT) | instid1(VALU_DEP_4)
	v_add_f32_e32 v58, v58, v65
	v_fmamk_f32 v64, v23, 0xbe3c28d5, v63
	v_fma_f32 v62, 0xbf7ba420, v126, -v62
	v_fmac_f32_e32 v63, 0x3e3c28d5, v23
	v_fmamk_f32 v65, v126, 0xbe8c1d8e, v57
	v_fma_f32 v57, 0xbe8c1d8e, v126, -v57
	s_delay_alu instid0(VALU_DEP_4) | instskip(NEXT) | instid1(VALU_DEP_4)
	v_dual_add_f32 v64, v64, v66 :: v_dual_add_f32 v61, v62, v61
	v_add_f32_e32 v62, v63, v67
	s_delay_alu instid0(VALU_DEP_4) | instskip(SKIP_4) | instid1(VALU_DEP_3)
	v_dual_mul_f32 v66, 0x3f2c7751, v121 :: v_dual_add_f32 v63, v65, v71
	v_fmamk_f32 v65, v23, 0xbf763a35, v125
	v_fmac_f32_e32 v125, 0x3f763a35, v23
	v_mul_f32_e32 v67, 0x3f3d2fb0, v14
	v_add_f32_e32 v57, v57, v68
	v_dual_mul_f32 v71, 0xbeb8f4ab, v121 :: v_dual_add_f32 v68, v125, v70
	s_delay_alu instid0(VALU_DEP_3) | instskip(SKIP_2) | instid1(VALU_DEP_3)
	v_dual_fmamk_f32 v70, v23, 0xbf2c7751, v67 :: v_dual_add_f32 v65, v65, v69
	v_fmamk_f32 v69, v126, 0x3f3d2fb0, v66
	v_fma_f32 v66, 0x3f3d2fb0, v126, -v66
	v_dual_fmac_f32 v67, 0x3f2c7751, v23 :: v_dual_add_f32 v70, v70, v74
	s_delay_alu instid0(VALU_DEP_3) | instskip(SKIP_1) | instid1(VALU_DEP_3)
	v_dual_mul_f32 v74, 0x3f6eb680, v14 :: v_dual_add_f32 v69, v69, v73
	v_fmamk_f32 v73, v126, 0x3f6eb680, v71
	v_add_f32_e32 v67, v67, v76
	v_fma_f32 v71, 0x3f6eb680, v126, -v71
	s_delay_alu instid0(VALU_DEP_4) | instskip(SKIP_4) | instid1(VALU_DEP_4)
	v_fmamk_f32 v76, v23, 0x3eb8f4ab, v74
	v_dual_add_f32 v66, v66, v75 :: v_dual_mul_f32 v75, 0xbf7ee86f, v121
	v_dual_fmac_f32 v74, 0xbeb8f4ab, v23 :: v_dual_add_f32 v73, v73, v77
	v_mul_f32_e32 v125, 0x3dbcf732, v14
	v_add_f32_e32 v71, v71, v72
	v_fmamk_f32 v77, v126, 0x3dbcf732, v75
	v_mul_f32_e32 v14, 0xbf59a7d5, v14
	v_add_f32_e32 v72, v74, v81
	v_fma_f32 v75, 0x3dbcf732, v126, -v75
	v_add_f32_e32 v76, v76, v78
	v_dual_add_f32 v74, v77, v83 :: v_dual_fmamk_f32 v77, v23, 0x3f7ee86f, v125
	v_fmac_f32_e32 v125, 0xbf7ee86f, v23
	s_delay_alu instid0(VALU_DEP_1) | instskip(SKIP_3) | instid1(VALU_DEP_3)
	v_dual_add_f32 v75, v75, v80 :: v_dual_add_f32 v80, v125, v82
	v_sub_f32_e32 v82, v30, v12
	v_add_f32_e32 v12, v30, v12
	v_dual_mul_f32 v78, 0xbf06c442, v121 :: v_dual_add_f32 v77, v77, v79
	v_mul_f32_e32 v30, 0xbf7ee86f, v82
	v_fmamk_f32 v81, v23, 0x3f06c442, v14
	s_delay_alu instid0(VALU_DEP_3) | instskip(SKIP_2) | instid1(VALU_DEP_4)
	v_fmamk_f32 v79, v126, 0xbf59a7d5, v78
	v_fma_f32 v78, 0xbf59a7d5, v126, -v78
	v_dual_fmac_f32 v14, 0xbf06c442, v23 :: v_dual_sub_f32 v23, v32, v60
	v_add_f32_e32 v59, v81, v59
	v_add_f32_e32 v81, v32, v60
	v_mul_f32_e32 v32, 0x3dbcf732, v12
	v_add_f32_e32 v18, v78, v18
	v_add_f32_e32 v6, v14, v6
	v_mul_f32_e32 v14, 0xbe3c28d5, v82
	v_fmamk_f32 v60, v81, 0x3dbcf732, v30
	v_fmamk_f32 v78, v23, 0x3f7ee86f, v32
	v_fmac_f32_e32 v32, 0xbf7ee86f, v23
	v_fma_f32 v30, 0x3dbcf732, v81, -v30
	s_delay_alu instid0(VALU_DEP_4) | instskip(NEXT) | instid1(VALU_DEP_4)
	v_dual_add_f32 v19, v60, v19 :: v_dual_fmamk_f32 v60, v81, 0xbf7ba420, v14
	v_dual_add_f32 v15, v78, v15 :: v_dual_mul_f32 v78, 0xbf7ba420, v12
	s_delay_alu instid0(VALU_DEP_4) | instskip(SKIP_1) | instid1(VALU_DEP_4)
	v_add_f32_e32 v32, v32, v35
	v_fma_f32 v14, 0xbf7ba420, v81, -v14
	v_dual_add_f32 v31, v60, v31 :: v_dual_mul_f32 v60, 0xbe8c1d8e, v12
	s_delay_alu instid0(VALU_DEP_4) | instskip(SKIP_3) | instid1(VALU_DEP_3)
	v_fmamk_f32 v35, v23, 0x3e3c28d5, v78
	v_fmac_f32_e32 v78, 0xbe3c28d5, v23
	v_dual_add_f32 v30, v30, v33 :: v_dual_mul_f32 v33, 0x3f763a35, v82
	v_add_f32_e32 v7, v14, v7
	v_dual_add_f32 v35, v35, v56 :: v_dual_add_f32 v14, v78, v34
	v_fmamk_f32 v34, v23, 0xbf763a35, v60
	v_fmac_f32_e32 v60, 0x3f763a35, v23
	s_delay_alu instid0(VALU_DEP_2) | instskip(SKIP_2) | instid1(VALU_DEP_4)
	v_dual_add_f32 v34, v34, v64 :: v_dual_fmamk_f32 v83, v81, 0xbe8c1d8e, v33
	v_fma_f32 v33, 0xbe8c1d8e, v81, -v33
	v_mul_f32_e32 v64, 0x3f6eb680, v12
	v_add_f32_e32 v60, v60, v62
	s_delay_alu instid0(VALU_DEP_4) | instskip(NEXT) | instid1(VALU_DEP_4)
	v_add_f32_e32 v56, v83, v58
	v_dual_mul_f32 v58, 0x3eb8f4ab, v82 :: v_dual_add_f32 v33, v33, v61
	v_mul_f32_e32 v61, 0xbf65296c, v82
	v_fmamk_f32 v62, v23, 0xbeb8f4ab, v64
	v_fmac_f32_e32 v64, 0x3eb8f4ab, v23
	s_delay_alu instid0(VALU_DEP_4) | instskip(SKIP_1) | instid1(VALU_DEP_4)
	v_fmamk_f32 v78, v81, 0x3f6eb680, v58
	v_fma_f32 v58, 0x3f6eb680, v81, -v58
	v_dual_add_f32 v62, v62, v65 :: v_dual_mul_f32 v65, 0x3ee437d1, v12
	s_delay_alu instid0(VALU_DEP_3) | instskip(NEXT) | instid1(VALU_DEP_3)
	v_dual_add_f32 v63, v78, v63 :: v_dual_fmamk_f32 v78, v81, 0x3ee437d1, v61
	v_dual_add_f32 v57, v58, v57 :: v_dual_add_f32 v58, v64, v68
	v_mul_f32_e32 v68, 0xbf06c442, v82
	v_fma_f32 v61, 0x3ee437d1, v81, -v61
	s_delay_alu instid0(VALU_DEP_4) | instskip(SKIP_1) | instid1(VALU_DEP_4)
	v_dual_add_f32 v64, v78, v69 :: v_dual_fmamk_f32 v69, v23, 0x3f65296c, v65
	v_fmac_f32_e32 v65, 0xbf65296c, v23
	v_dual_mul_f32 v78, 0xbf59a7d5, v12 :: v_dual_fmamk_f32 v83, v81, 0xbf59a7d5, v68
	v_add_f32_e32 v79, v79, v122
	s_delay_alu instid0(VALU_DEP_4) | instskip(SKIP_1) | instid1(VALU_DEP_4)
	v_add_f32_e32 v69, v69, v70
	v_add_f32_e32 v61, v61, v66
	v_dual_add_f32 v65, v65, v67 :: v_dual_fmamk_f32 v66, v23, 0x3f06c442, v78
	v_dual_add_f32 v67, v83, v73 :: v_dual_mul_f32 v70, 0x3f4c4adb, v82
	v_fma_f32 v68, 0xbf59a7d5, v81, -v68
	v_fmac_f32_e32 v78, 0xbf06c442, v23
	v_mul_f32_e32 v73, 0xbf1a4643, v12
	v_add_f32_e32 v66, v66, v76
	v_mul_f32_e32 v12, 0x3f3d2fb0, v12
	s_delay_alu instid0(VALU_DEP_4) | instskip(SKIP_4) | instid1(VALU_DEP_2)
	v_dual_add_f32 v68, v68, v71 :: v_dual_add_f32 v71, v78, v72
	v_mul_f32_e32 v72, 0x3f2c7751, v82
	v_fmamk_f32 v78, v23, 0xbf4c4adb, v73
	v_fmamk_f32 v76, v81, 0xbf1a4643, v70
	v_fma_f32 v70, 0xbf1a4643, v81, -v70
	v_dual_fmac_f32 v73, 0x3f4c4adb, v23 :: v_dual_add_f32 v74, v76, v74
	v_fmamk_f32 v76, v81, 0x3f3d2fb0, v72
	s_delay_alu instid0(VALU_DEP_3) | instskip(SKIP_1) | instid1(VALU_DEP_3)
	v_add_f32_e32 v70, v70, v75
	v_fma_f32 v72, 0x3f3d2fb0, v81, -v72
	v_dual_add_f32 v75, v76, v79 :: v_dual_sub_f32 v76, v27, v13
	v_add_f32_e32 v13, v27, v13
	v_add_f32_e32 v27, v29, v17
	v_sub_f32_e32 v17, v29, v17
	v_dual_add_f32 v77, v78, v77 :: v_dual_fmamk_f32 v78, v23, 0xbf2c7751, v12
	v_mul_f32_e32 v79, 0xbf763a35, v76
	v_fmac_f32_e32 v12, 0x3f2c7751, v23
	v_dual_mul_f32 v23, 0xbe8c1d8e, v13 :: v_dual_add_f32 v18, v72, v18
	s_delay_alu instid0(VALU_DEP_4) | instskip(NEXT) | instid1(VALU_DEP_3)
	v_add_f32_e32 v29, v78, v59
	v_dual_fmamk_f32 v59, v27, 0xbe8c1d8e, v79 :: v_dual_add_f32 v6, v12, v6
	s_delay_alu instid0(VALU_DEP_3) | instskip(SKIP_2) | instid1(VALU_DEP_4)
	v_fmamk_f32 v12, v17, 0x3f763a35, v23
	v_mul_f32_e32 v72, 0x3f06c442, v76
	v_fmac_f32_e32 v23, 0xbf763a35, v17
	v_add_f32_e32 v19, v59, v19
	v_fma_f32 v59, 0xbe8c1d8e, v27, -v79
	s_delay_alu instid0(VALU_DEP_4) | instskip(NEXT) | instid1(VALU_DEP_4)
	v_dual_add_f32 v12, v12, v15 :: v_dual_fmamk_f32 v15, v27, 0xbf59a7d5, v72
	v_dual_mul_f32 v78, 0xbf59a7d5, v13 :: v_dual_add_f32 v23, v23, v32
	v_mul_f32_e32 v32, 0x3f2c7751, v76
	s_delay_alu instid0(VALU_DEP_4) | instskip(NEXT) | instid1(VALU_DEP_4)
	v_add_f32_e32 v30, v59, v30
	v_add_f32_e32 v15, v15, v31
	s_delay_alu instid0(VALU_DEP_4) | instskip(SKIP_3) | instid1(VALU_DEP_4)
	v_fmamk_f32 v31, v17, 0xbf06c442, v78
	v_fma_f32 v59, 0xbf59a7d5, v27, -v72
	v_fmac_f32_e32 v78, 0x3f06c442, v17
	v_dual_fmamk_f32 v72, v27, 0x3f3d2fb0, v32 :: v_dual_mul_f32 v79, 0x3f3d2fb0, v13
	v_add_f32_e32 v31, v31, v35
	v_fma_f32 v32, 0x3f3d2fb0, v27, -v32
	s_delay_alu instid0(VALU_DEP_3) | instskip(NEXT) | instid1(VALU_DEP_4)
	v_dual_add_f32 v14, v78, v14 :: v_dual_add_f32 v35, v72, v56
	v_fmamk_f32 v56, v17, 0xbf2c7751, v79
	v_fmac_f32_e32 v79, 0x3f2c7751, v17
	v_dual_mul_f32 v72, 0x3ee437d1, v13 :: v_dual_add_f32 v7, v59, v7
	v_dual_mul_f32 v59, 0xbf65296c, v76 :: v_dual_add_f32 v32, v32, v33
	s_delay_alu instid0(VALU_DEP_2) | instskip(SKIP_2) | instid1(VALU_DEP_4)
	v_dual_add_f32 v33, v79, v60 :: v_dual_fmamk_f32 v60, v17, 0x3f65296c, v72
	v_mul_f32_e32 v78, 0xbe3c28d5, v76
	v_add_f32_e32 v34, v56, v34
	v_fmamk_f32 v56, v27, 0x3ee437d1, v59
	v_fma_f32 v59, 0x3ee437d1, v27, -v59
	v_fmac_f32_e32 v72, 0xbf65296c, v17
	v_add_f32_e32 v60, v60, v62
	v_fmamk_f32 v62, v27, 0xbf7ba420, v78
	s_delay_alu instid0(VALU_DEP_4) | instskip(NEXT) | instid1(VALU_DEP_4)
	v_dual_add_f32 v56, v56, v63 :: v_dual_add_f32 v57, v59, v57
	v_add_f32_e32 v58, v72, v58
	v_fma_f32 v72, 0xbf7ba420, v27, -v78
	s_delay_alu instid0(VALU_DEP_4) | instskip(SKIP_2) | instid1(VALU_DEP_4)
	v_add_f32_e32 v62, v62, v64
	v_mul_f32_e32 v59, 0x3f7ee86f, v76
	v_add_f32_e32 v73, v73, v80
	v_add_f32_e32 v61, v72, v61
	v_mul_f32_e32 v72, 0x3f6eb680, v13
	s_delay_alu instid0(VALU_DEP_4) | instskip(SKIP_1) | instid1(VALU_DEP_1)
	v_fmamk_f32 v78, v27, 0x3dbcf732, v59
	v_fma_f32 v59, 0x3dbcf732, v27, -v59
	v_dual_add_f32 v59, v59, v68 :: v_dual_fmamk_f32 v68, v17, 0x3eb8f4ab, v72
	v_mul_f32_e32 v63, 0xbf7ba420, v13
	v_mul_f32_e32 v79, 0x3dbcf732, v13
	s_delay_alu instid0(VALU_DEP_2) | instskip(NEXT) | instid1(VALU_DEP_4)
	v_fmamk_f32 v64, v17, 0x3e3c28d5, v63
	v_add_f32_e32 v68, v68, v77
	s_delay_alu instid0(VALU_DEP_2) | instskip(SKIP_3) | instid1(VALU_DEP_2)
	v_dual_add_f32 v64, v64, v69 :: v_dual_mul_f32 v69, 0xbeb8f4ab, v76
	v_mul_f32_e32 v76, 0xbf4c4adb, v76
	v_fmac_f32_e32 v63, 0xbe3c28d5, v17
	v_fmac_f32_e32 v72, 0xbeb8f4ab, v17
	v_add_f32_e32 v63, v63, v65
	v_add_f32_e32 v65, v78, v67
	s_delay_alu instid0(VALU_DEP_3) | instskip(NEXT) | instid1(VALU_DEP_1)
	v_dual_fmamk_f32 v67, v17, 0xbf7ee86f, v79 :: v_dual_add_f32 v72, v72, v73
	v_dual_fmac_f32 v79, 0x3f7ee86f, v17 :: v_dual_add_f32 v66, v67, v66
	v_fmamk_f32 v67, v27, 0x3f6eb680, v69
	v_fma_f32 v69, 0x3f6eb680, v27, -v69
	s_delay_alu instid0(VALU_DEP_2) | instskip(SKIP_1) | instid1(VALU_DEP_1)
	v_add_f32_e32 v67, v67, v74
	v_dual_fmamk_f32 v74, v27, 0xbf1a4643, v76 :: v_dual_mul_f32 v13, 0xbf1a4643, v13
	v_add_f32_e32 v73, v74, v75
	v_add_f32_e32 v75, v28, v22
	v_dual_add_f32 v69, v69, v70 :: v_dual_sub_f32 v70, v26, v16
	v_add_f32_e32 v16, v26, v16
	v_fmamk_f32 v74, v17, 0x3f4c4adb, v13
	v_fma_f32 v26, 0xbf1a4643, v27, -v76
	v_fmac_f32_e32 v13, 0xbf4c4adb, v17
	v_mul_f32_e32 v77, 0xbf4c4adb, v70
	v_sub_f32_e32 v17, v28, v22
	s_delay_alu instid0(VALU_DEP_4) | instskip(NEXT) | instid1(VALU_DEP_4)
	v_dual_mul_f32 v27, 0xbf1a4643, v16 :: v_dual_add_f32 v18, v26, v18
	v_add_f32_e32 v6, v13, v6
	s_delay_alu instid0(VALU_DEP_4) | instskip(SKIP_3) | instid1(VALU_DEP_4)
	v_fmamk_f32 v22, v75, 0xbf1a4643, v77
	v_fma_f32 v26, 0xbf1a4643, v75, -v77
	v_add_f32_e32 v28, v74, v29
	v_dual_mul_f32 v74, 0xbf59a7d5, v16 :: v_dual_add_f32 v71, v79, v71
	v_add_f32_e32 v13, v22, v19
	v_fmamk_f32 v19, v17, 0x3f4c4adb, v27
	v_mul_f32_e32 v22, 0x3f763a35, v70
	v_dual_fmac_f32 v27, 0xbf4c4adb, v17 :: v_dual_add_f32 v26, v26, v30
	v_mul_f32_e32 v29, 0xbe8c1d8e, v16
	s_delay_alu instid0(VALU_DEP_4) | instskip(NEXT) | instid1(VALU_DEP_4)
	v_add_f32_e32 v12, v19, v12
	v_fmamk_f32 v19, v75, 0xbe8c1d8e, v22
	s_delay_alu instid0(VALU_DEP_4) | instskip(NEXT) | instid1(VALU_DEP_2)
	v_dual_add_f32 v23, v27, v23 :: v_dual_mul_f32 v30, 0xbeb8f4ab, v70
	v_add_f32_e32 v15, v19, v15
	v_fma_f32 v19, 0xbe8c1d8e, v75, -v22
	s_delay_alu instid0(VALU_DEP_1) | instskip(SKIP_1) | instid1(VALU_DEP_1)
	v_add_f32_e32 v7, v19, v7
	v_fmamk_f32 v27, v17, 0xbf763a35, v29
	v_dual_add_f32 v22, v27, v31 :: v_dual_fmac_f32 v29, 0x3f763a35, v17
	s_delay_alu instid0(VALU_DEP_1) | instskip(NEXT) | instid1(VALU_DEP_1)
	v_dual_mul_f32 v31, 0x3f6eb680, v16 :: v_dual_add_f32 v14, v29, v14
	v_fmamk_f32 v29, v17, 0x3eb8f4ab, v31
	v_fmac_f32_e32 v31, 0xbeb8f4ab, v17
	v_fmamk_f32 v27, v75, 0x3f6eb680, v30
	v_fma_f32 v30, 0x3f6eb680, v75, -v30
	s_delay_alu instid0(VALU_DEP_4) | instskip(NEXT) | instid1(VALU_DEP_4)
	v_add_f32_e32 v29, v29, v34
	v_dual_mul_f32 v34, 0x3f7ee86f, v70 :: v_dual_add_f32 v31, v31, v33
	v_mul_f32_e32 v19, 0xbf06c442, v70
	s_delay_alu instid0(VALU_DEP_4) | instskip(SKIP_2) | instid1(VALU_DEP_4)
	v_dual_add_f32 v27, v27, v35 :: v_dual_add_f32 v30, v30, v32
	v_fmamk_f32 v33, v17, 0x3f06c442, v74
	v_fmac_f32_e32 v74, 0xbf06c442, v17
	v_fmamk_f32 v35, v75, 0xbf59a7d5, v19
	v_fma_f32 v19, 0xbf59a7d5, v75, -v19
	s_delay_alu instid0(VALU_DEP_4) | instskip(NEXT) | instid1(VALU_DEP_3)
	v_dual_add_f32 v33, v33, v60 :: v_dual_mul_f32 v60, 0xbf2c7751, v70
	v_add_f32_e32 v32, v35, v56
	v_mul_f32_e32 v35, 0x3dbcf732, v16
	s_delay_alu instid0(VALU_DEP_4) | instskip(SKIP_1) | instid1(VALU_DEP_3)
	v_add_f32_e32 v19, v19, v57
	v_dual_add_f32 v57, v74, v58 :: v_dual_mul_f32 v74, 0xbf7ba420, v16
	v_fmamk_f32 v58, v17, 0xbf7ee86f, v35
	s_delay_alu instid0(VALU_DEP_1) | instskip(SKIP_4) | instid1(VALU_DEP_2)
	v_add_f32_e32 v58, v58, v64
	v_mul_f32_e32 v64, 0x3f3d2fb0, v16
	v_mul_f32_e32 v16, 0x3ee437d1, v16
	v_fmamk_f32 v56, v75, 0x3dbcf732, v34
	v_fma_f32 v34, 0x3dbcf732, v75, -v34
	v_add_f32_e32 v56, v56, v62
	v_fmamk_f32 v62, v75, 0x3f3d2fb0, v60
	s_delay_alu instid0(VALU_DEP_3) | instskip(SKIP_1) | instid1(VALU_DEP_3)
	v_add_f32_e32 v34, v34, v61
	v_fma_f32 v60, 0x3f3d2fb0, v75, -v60
	v_add_f32_e32 v62, v62, v65
	v_fmac_f32_e32 v35, 0x3f7ee86f, v17
	s_delay_alu instid0(VALU_DEP_3) | instskip(NEXT) | instid1(VALU_DEP_2)
	v_add_f32_e32 v59, v60, v59
	v_add_f32_e32 v35, v35, v63
	v_mul_f32_e32 v61, 0xbe3c28d5, v70
	v_fmamk_f32 v63, v17, 0x3f2c7751, v64
	s_delay_alu instid0(VALU_DEP_2) | instskip(NEXT) | instid1(VALU_DEP_2)
	v_fmamk_f32 v65, v75, 0xbf7ba420, v61
	v_add_f32_e32 v63, v63, v66
	v_mul_f32_e32 v66, 0x3f65296c, v70
	v_sub_f32_e32 v70, v25, v20
	v_add_f32_e32 v20, v25, v20
	v_fmac_f32_e32 v64, 0xbf2c7751, v17
	v_fma_f32 v61, 0xbf7ba420, v75, -v61
	s_delay_alu instid0(VALU_DEP_2) | instskip(SKIP_4) | instid1(VALU_DEP_3)
	v_add_f32_e32 v60, v64, v71
	v_add_f32_e32 v64, v65, v67
	v_fmamk_f32 v65, v17, 0x3e3c28d5, v74
	v_fmac_f32_e32 v74, 0xbe3c28d5, v17
	v_add_f32_e32 v61, v61, v69
	v_add_f32_e32 v65, v65, v68
	v_fmamk_f32 v68, v17, 0xbf65296c, v16
	v_mul_f32_e32 v25, 0xbf06c442, v70
	v_fmac_f32_e32 v16, 0x3f65296c, v17
	v_sub_f32_e32 v17, v24, v21
	s_delay_alu instid0(VALU_DEP_4) | instskip(SKIP_1) | instid1(VALU_DEP_4)
	v_add_f32_e32 v28, v68, v28
	v_add_f32_e32 v68, v24, v21
	;; [unrolled: 1-line block ×3, first 2 shown]
	v_mul_f32_e32 v16, 0x3f65296c, v70
	s_delay_alu instid0(VALU_DEP_3) | instskip(NEXT) | instid1(VALU_DEP_1)
	v_fmamk_f32 v24, v68, 0xbf59a7d5, v25
	v_add_f32_e32 v13, v24, v13
	v_fmamk_f32 v67, v75, 0x3ee437d1, v66
	v_fma_f32 v66, 0x3ee437d1, v75, -v66
	v_fma_f32 v24, 0xbf59a7d5, v68, -v25
	v_fmamk_f32 v25, v68, 0x3ee437d1, v16
	v_fma_f32 v16, 0x3ee437d1, v68, -v16
	s_delay_alu instid0(VALU_DEP_4) | instskip(NEXT) | instid1(VALU_DEP_4)
	v_dual_add_f32 v18, v66, v18 :: v_dual_mul_f32 v21, 0xbf59a7d5, v20
	v_add_f32_e32 v24, v24, v26
	s_delay_alu instid0(VALU_DEP_3) | instskip(SKIP_1) | instid1(VALU_DEP_4)
	v_add_f32_e32 v16, v16, v7
	v_dual_add_f32 v15, v25, v15 :: v_dual_mul_f32 v26, 0x3dbcf732, v20
	v_fmamk_f32 v66, v17, 0x3f06c442, v21
	s_delay_alu instid0(VALU_DEP_1) | instskip(NEXT) | instid1(VALU_DEP_1)
	v_dual_fmac_f32 v21, 0xbf06c442, v17 :: v_dual_add_f32 v12, v66, v12
	v_add_f32_e32 v21, v21, v23
	v_mul_f32_e32 v23, 0xbf7ee86f, v70
	v_mul_f32_e32 v66, 0x3ee437d1, v20
	s_delay_alu instid0(VALU_DEP_2) | instskip(SKIP_1) | instid1(VALU_DEP_1)
	v_fmamk_f32 v71, v68, 0x3dbcf732, v23
	v_fma_f32 v23, 0x3dbcf732, v68, -v23
	v_add_f32_e32 v23, v23, v30
	s_delay_alu instid0(VALU_DEP_4) | instskip(SKIP_2) | instid1(VALU_DEP_3)
	v_fmamk_f32 v25, v17, 0xbf65296c, v66
	v_fmac_f32_e32 v66, 0x3f65296c, v17
	v_mul_f32_e32 v30, 0xbeb8f4ab, v70
	v_dual_add_f32 v22, v25, v22 :: v_dual_add_f32 v25, v71, v27
	v_mul_f32_e32 v27, 0x3f4c4adb, v70
	s_delay_alu instid0(VALU_DEP_4) | instskip(NEXT) | instid1(VALU_DEP_2)
	v_add_f32_e32 v14, v66, v14
	v_fmamk_f32 v66, v68, 0xbf1a4643, v27
	v_fma_f32 v27, 0xbf1a4643, v68, -v27
	s_delay_alu instid0(VALU_DEP_2)
	v_dual_add_f32 v66, v66, v32 :: v_dual_fmamk_f32 v7, v17, 0x3f7ee86f, v26
	v_fmac_f32_e32 v26, 0xbf7ee86f, v17
	v_fmamk_f32 v32, v68, 0x3f6eb680, v30
	v_fma_f32 v30, 0x3f6eb680, v68, -v30
	v_add_f32_e32 v19, v27, v19
	v_add_f32_e32 v29, v7, v29
	v_dual_mul_f32 v7, 0xbf1a4643, v20 :: v_dual_add_f32 v26, v26, v31
	v_add_f32_e32 v56, v32, v56
	s_delay_alu instid0(VALU_DEP_2) | instskip(SKIP_1) | instid1(VALU_DEP_2)
	v_dual_add_f32 v30, v30, v34 :: v_dual_fmamk_f32 v31, v17, 0xbf4c4adb, v7
	v_fmac_f32_e32 v7, 0x3f4c4adb, v17
	v_add_f32_e32 v31, v31, v33
	v_mul_f32_e32 v33, 0x3f6eb680, v20
	s_delay_alu instid0(VALU_DEP_3) | instskip(SKIP_2) | instid1(VALU_DEP_4)
	v_add_f32_e32 v27, v7, v57
	v_mul_f32_e32 v7, 0xbe3c28d5, v70
	v_mul_f32_e32 v57, 0xbf7ba420, v20
	v_dual_add_f32 v69, v74, v72 :: v_dual_fmamk_f32 v32, v17, 0x3eb8f4ab, v33
	s_delay_alu instid0(VALU_DEP_3) | instskip(SKIP_1) | instid1(VALU_DEP_3)
	v_fmamk_f32 v71, v68, 0xbf7ba420, v7
	v_fma_f32 v7, 0xbf7ba420, v68, -v7
	v_add_f32_e32 v58, v32, v58
	v_fmamk_f32 v32, v17, 0x3e3c28d5, v57
	s_delay_alu instid0(VALU_DEP_4) | instskip(NEXT) | instid1(VALU_DEP_4)
	v_add_f32_e32 v62, v71, v62
	v_add_f32_e32 v59, v7, v59
	v_sub_f32_e32 v71, v8, v9
	s_delay_alu instid0(VALU_DEP_4) | instskip(SKIP_2) | instid1(VALU_DEP_1)
	v_dual_add_f32 v63, v32, v63 :: v_dual_mul_f32 v32, 0x3f3d2fb0, v20
	v_mul_f32_e32 v20, 0xbe8c1d8e, v20
	v_fmac_f32_e32 v33, 0xbeb8f4ab, v17
	v_dual_fmac_f32 v57, 0xbe3c28d5, v17 :: v_dual_add_f32 v72, v33, v35
	v_mul_f32_e32 v33, 0x3f2c7751, v70
	v_fmamk_f32 v35, v17, 0xbf2c7751, v32
	s_delay_alu instid0(VALU_DEP_3) | instskip(NEXT) | instid1(VALU_DEP_3)
	v_dual_fmac_f32 v32, 0x3f2c7751, v17 :: v_dual_add_f32 v57, v57, v60
	v_fmamk_f32 v34, v68, 0x3f3d2fb0, v33
	v_fma_f32 v33, 0x3f3d2fb0, v68, -v33
	s_delay_alu instid0(VALU_DEP_2)
	v_add_f32_e32 v60, v34, v64
	v_add_f32_e32 v64, v35, v65
	;; [unrolled: 1-line block ×3, first 2 shown]
	v_sub_f32_e32 v69, v10, v11
	v_dual_mul_f32 v7, 0xbf763a35, v70 :: v_dual_add_f32 v70, v8, v9
	v_fmamk_f32 v32, v17, 0x3f763a35, v20
	v_fmac_f32_e32 v20, 0xbf763a35, v17
	s_delay_alu instid0(VALU_DEP_3) | instskip(SKIP_2) | instid1(VALU_DEP_4)
	v_dual_add_f32 v61, v33, v61 :: v_dual_fmamk_f32 v34, v68, 0xbe8c1d8e, v7
	v_fma_f32 v7, 0xbe8c1d8e, v68, -v7
	v_add_f32_e32 v68, v10, v11
	v_dual_mul_f32 v10, 0xbe3c28d5, v69 :: v_dual_add_f32 v75, v20, v6
	s_delay_alu instid0(VALU_DEP_3) | instskip(NEXT) | instid1(VALU_DEP_2)
	v_dual_mul_f32 v11, 0x3eb8f4ab, v69 :: v_dual_add_f32 v74, v7, v18
	v_dual_mul_f32 v8, 0xbf7ba420, v68 :: v_dual_fmamk_f32 v9, v70, 0xbf7ba420, v10
	v_mul_f32_e32 v17, 0x3f3d2fb0, v68
	v_mul_f32_e32 v20, 0xbf4c4adb, v69
	s_delay_alu instid0(VALU_DEP_3) | instskip(SKIP_2) | instid1(VALU_DEP_3)
	v_dual_fmamk_f32 v7, v71, 0x3e3c28d5, v8 :: v_dual_add_f32 v6, v9, v13
	v_add_f32_e32 v67, v67, v73
	v_fma_f32 v9, 0xbf7ba420, v70, -v10
	v_dual_fmac_f32 v8, 0xbe3c28d5, v71 :: v_dual_add_f32 v7, v7, v12
	v_fmamk_f32 v10, v70, 0x3f6eb680, v11
	v_mul_f32_e32 v12, 0x3f6eb680, v68
	v_mul_f32_e32 v13, 0xbf06c442, v69
	v_dual_add_f32 v67, v34, v67 :: v_dual_add_f32 v34, v9, v24
	s_delay_alu instid0(VALU_DEP_4) | instskip(NEXT) | instid1(VALU_DEP_4)
	v_dual_add_f32 v35, v8, v21 :: v_dual_add_f32 v8, v10, v15
	v_fmamk_f32 v9, v71, 0xbeb8f4ab, v12
	v_fma_f32 v10, 0x3f6eb680, v70, -v11
	v_fmac_f32_e32 v12, 0x3eb8f4ab, v71
	v_fmamk_f32 v11, v70, 0xbf59a7d5, v13
	v_mul_f32_e32 v15, 0xbf59a7d5, v68
	v_add_f32_e32 v73, v32, v28
	s_delay_alu instid0(VALU_DEP_4) | instskip(NEXT) | instid1(VALU_DEP_4)
	v_dual_add_f32 v32, v10, v16 :: v_dual_add_f32 v33, v12, v14
	v_add_f32_e32 v10, v11, v25
	s_delay_alu instid0(VALU_DEP_4)
	v_fmamk_f32 v11, v71, 0x3f06c442, v15
	v_fma_f32 v12, 0xbf59a7d5, v70, -v13
	v_fmac_f32_e32 v15, 0xbf06c442, v71
	v_mul_f32_e32 v16, 0x3f2c7751, v69
	v_mul_f32_e32 v25, 0x3ee437d1, v68
	v_fmamk_f32 v18, v70, 0xbf1a4643, v20
	s_delay_alu instid0(VALU_DEP_4)
	v_dual_add_f32 v12, v12, v23 :: v_dual_add_f32 v13, v15, v26
	v_fmamk_f32 v15, v71, 0xbf2c7751, v17
	v_fmac_f32_e32 v17, 0x3f2c7751, v71
	v_mul_f32_e32 v23, 0x3f65296c, v69
	v_fmamk_f32 v14, v70, 0x3f3d2fb0, v16
	v_fma_f32 v16, 0x3f3d2fb0, v70, -v16
	v_mul_f32_e32 v21, 0xbf1a4643, v68
	v_fma_f32 v20, 0xbf1a4643, v70, -v20
	v_fmamk_f32 v24, v71, 0xbf65296c, v25
	v_mul_f32_e32 v26, 0xbf763a35, v69
	v_fmac_f32_e32 v25, 0x3f65296c, v71
	v_add_f32_e32 v11, v11, v29
	v_add_f32_e32 v17, v17, v27
	v_fma_f32 v27, 0x3ee437d1, v70, -v23
	v_mul_f32_e32 v29, 0xbe8c1d8e, v68
	v_add_f32_e32 v15, v15, v31
	v_dual_add_f32 v16, v16, v19 :: v_dual_fmamk_f32 v19, v71, 0x3f4c4adb, v21
	v_add_f32_e32 v20, v20, v30
	v_dual_fmamk_f32 v28, v70, 0xbe8c1d8e, v26 :: v_dual_add_f32 v25, v25, v57
	v_fma_f32 v30, 0xbe8c1d8e, v70, -v26
	v_mul_f32_e32 v31, 0x3f7ee86f, v69
	v_mul_f32_e32 v57, 0x3dbcf732, v68
	v_dual_add_f32 v9, v9, v22 :: v_dual_fmamk_f32 v22, v70, 0x3ee437d1, v23
	v_add_f32_e32 v23, v24, v63
	v_add_f32_e32 v24, v27, v59
	v_dual_fmamk_f32 v27, v71, 0x3f763a35, v29 :: v_dual_add_f32 v18, v18, v56
	v_fmamk_f32 v56, v71, 0xbf7ee86f, v57
	v_dual_add_f32 v19, v19, v58 :: v_dual_add_f32 v26, v28, v60
	v_add_f32_e32 v28, v30, v61
	v_fmamk_f32 v30, v70, 0x3dbcf732, v31
	v_fma_f32 v58, 0x3dbcf732, v70, -v31
	v_fmac_f32_e32 v57, 0x3f7ee86f, v71
	v_fmac_f32_e32 v21, 0xbf4c4adb, v71
	v_dual_fmac_f32 v29, 0xbf763a35, v71 :: v_dual_add_f32 v14, v14, v66
	v_dual_add_f32 v22, v22, v62 :: v_dual_add_f32 v27, v27, v64
	v_dual_add_f32 v30, v30, v67 :: v_dual_add_f32 v31, v56, v73
	;; [unrolled: 1-line block ×3, first 2 shown]
	v_add_f32_e32 v21, v21, v72
	v_add_f32_e32 v29, v29, v65
	ds_store_2addr_b64 v133, v[4:5], v[6:7] offset1:17
	ds_store_2addr_b64 v133, v[8:9], v[10:11] offset0:34 offset1:51
	ds_store_2addr_b64 v133, v[14:15], v[18:19] offset0:68 offset1:85
	;; [unrolled: 1-line block ×7, first 2 shown]
	ds_store_b64 v133, v[34:35] offset:2176
	v_add_nc_u32_e32 v4, 0x400, v129
	global_wb scope:SCOPE_SE
	s_wait_dscnt 0x0
	s_barrier_signal -1
	s_barrier_wait -1
	global_inv scope:SCOPE_SE
	ds_load_2addr_b64 v[8:11], v129 offset1:51
	ds_load_2addr_b64 v[4:7], v4 offset0:76 offset1:161
	ds_load_2addr_b64 v[28:31], v124 offset0:66 offset1:117
	;; [unrolled: 1-line block ×6, first 2 shown]
	ds_load_b64 v[56:57], v129 offset:6256
	s_and_saveexec_b32 s0, vcc_lo
	s_cbranch_execz .LBB0_7
; %bb.6:
	ds_load_b64 v[32:33], v129 offset:2040
	ds_load_b64 v[34:35], v129 offset:4352
	;; [unrolled: 1-line block ×3, first 2 shown]
.LBB0_7:
	s_wait_alu 0xfffe
	s_or_b32 exec_lo, exec_lo, s0
	s_wait_dscnt 0x5
	v_dual_mul_f32 v58, v41, v7 :: v_dual_mul_f32 v59, v43, v29
	v_mul_f32_e32 v41, v41, v6
	s_delay_alu instid0(VALU_DEP_2) | instskip(NEXT) | instid1(VALU_DEP_3)
	v_dual_mul_f32 v43, v43, v28 :: v_dual_fmac_f32 v58, v40, v6
	v_fmac_f32_e32 v59, v42, v28
	s_delay_alu instid0(VALU_DEP_3)
	v_fma_f32 v7, v40, v7, -v41
	s_wait_dscnt 0x4
	v_mul_f32_e32 v40, v53, v25
	v_mul_f32_e32 v6, v53, v24
	v_fma_f32 v28, v42, v29, -v43
	v_mul_f32_e32 v29, v55, v31
	s_delay_alu instid0(VALU_DEP_4)
	v_dual_mul_f32 v41, v49, v27 :: v_dual_fmac_f32 v40, v52, v24
	v_mul_f32_e32 v24, v55, v30
	v_fma_f32 v25, v52, v25, -v6
	s_wait_dscnt 0x2
	v_dual_fmac_f32 v29, v54, v30 :: v_dual_mul_f32 v30, v51, v21
	v_fmac_f32_e32 v41, v48, v26
	v_fma_f32 v24, v54, v31, -v24
	s_wait_dscnt 0x1
	s_delay_alu instid0(VALU_DEP_3) | instskip(SKIP_2) | instid1(VALU_DEP_3)
	v_dual_mul_f32 v31, v45, v17 :: v_dual_fmac_f32 v30, v50, v20
	v_mul_f32_e32 v6, v49, v26
	v_mul_f32_e32 v26, v51, v20
	v_fmac_f32_e32 v31, v44, v16
	s_delay_alu instid0(VALU_DEP_3)
	v_fma_f32 v27, v48, v27, -v6
	s_wait_dscnt 0x0
	v_dual_mul_f32 v6, v45, v16 :: v_dual_mul_f32 v45, v39, v57
	v_mul_f32_e32 v16, v47, v22
	v_mul_f32_e32 v42, v47, v23
	v_fma_f32 v26, v50, v21, -v26
	s_delay_alu instid0(VALU_DEP_4) | instskip(SKIP_4) | instid1(VALU_DEP_4)
	v_fma_f32 v43, v44, v17, -v6
	v_dual_fmac_f32 v45, v38, v56 :: v_dual_mul_f32 v44, v37, v19
	v_add_f32_e32 v17, v8, v58
	v_mul_f32_e32 v6, v37, v18
	v_add_f32_e32 v20, v10, v40
	v_dual_sub_f32 v21, v25, v24 :: v_dual_fmac_f32 v44, v36, v18
	v_sub_f32_e32 v18, v7, v28
	s_delay_alu instid0(VALU_DEP_4) | instskip(SKIP_2) | instid1(VALU_DEP_2)
	v_fma_f32 v36, v36, v19, -v6
	v_add_f32_e32 v6, v58, v59
	v_sub_f32_e32 v19, v58, v59
	v_fma_f32 v6, -0.5, v6, v8
	v_add_f32_e32 v8, v17, v59
	v_add_f32_e32 v17, v9, v7
	v_fma_f32 v37, v46, v23, -v16
	v_mul_f32_e32 v16, v39, v56
	v_fmac_f32_e32 v42, v46, v22
	v_add_f32_e32 v22, v11, v25
	v_sub_f32_e32 v23, v40, v29
	v_add_f32_e32 v39, v5, v36
	v_fma_f32 v38, v38, v57, -v16
	v_add_f32_e32 v16, v7, v28
	s_delay_alu instid0(VALU_DEP_1) | instskip(SKIP_1) | instid1(VALU_DEP_2)
	v_fma_f32 v7, -0.5, v16, v9
	v_dual_add_f32 v9, v17, v28 :: v_dual_fmamk_f32 v16, v18, 0xbf5db3d7, v6
	v_dual_sub_f32 v28, v41, v30 :: v_dual_fmamk_f32 v17, v19, 0x3f5db3d7, v7
	v_fmac_f32_e32 v7, 0xbf5db3d7, v19
	v_add_f32_e32 v19, v25, v24
	v_sub_f32_e32 v25, v27, v26
	s_delay_alu instid0(VALU_DEP_2) | instskip(SKIP_2) | instid1(VALU_DEP_2)
	v_dual_fmac_f32 v11, -0.5, v19 :: v_dual_fmac_f32 v6, 0x3f5db3d7, v18
	v_add_f32_e32 v18, v40, v29
	v_sub_f32_e32 v40, v44, v45
	v_fma_f32 v10, -0.5, v18, v10
	v_add_f32_e32 v18, v20, v29
	s_delay_alu instid0(VALU_DEP_2)
	v_dual_sub_f32 v29, v43, v37 :: v_dual_fmamk_f32 v20, v21, 0xbf5db3d7, v10
	v_dual_fmac_f32 v10, 0x3f5db3d7, v21 :: v_dual_fmamk_f32 v21, v23, 0x3f5db3d7, v11
	v_fmac_f32_e32 v11, 0xbf5db3d7, v23
	v_add_f32_e32 v23, v27, v26
	v_add_f32_e32 v27, v13, v27
	v_dual_add_f32 v19, v22, v24 :: v_dual_add_f32 v22, v41, v30
	s_delay_alu instid0(VALU_DEP_3) | instskip(NEXT) | instid1(VALU_DEP_3)
	v_fma_f32 v13, -0.5, v23, v13
	v_add_f32_e32 v23, v27, v26
	v_dual_add_f32 v27, v14, v31 :: v_dual_add_f32 v26, v31, v42
	s_delay_alu instid0(VALU_DEP_1) | instskip(NEXT) | instid1(VALU_DEP_2)
	v_fma_f32 v14, -0.5, v26, v14
	v_add_f32_e32 v26, v27, v42
	v_dual_add_f32 v27, v15, v43 :: v_dual_add_f32 v24, v12, v41
	v_fma_f32 v12, -0.5, v22, v12
	s_delay_alu instid0(VALU_DEP_2) | instskip(NEXT) | instid1(VALU_DEP_2)
	v_dual_add_f32 v27, v27, v37 :: v_dual_add_f32 v22, v24, v30
	v_fmamk_f32 v24, v25, 0xbf5db3d7, v12
	v_sub_f32_e32 v30, v31, v42
	v_dual_fmac_f32 v12, 0x3f5db3d7, v25 :: v_dual_fmamk_f32 v25, v28, 0x3f5db3d7, v13
	v_dual_fmac_f32 v13, 0xbf5db3d7, v28 :: v_dual_add_f32 v28, v43, v37
	v_add_f32_e32 v31, v44, v45
	v_add_f32_e32 v37, v4, v44
	s_delay_alu instid0(VALU_DEP_3) | instskip(SKIP_1) | instid1(VALU_DEP_4)
	v_dual_fmac_f32 v15, -0.5, v28 :: v_dual_fmamk_f32 v28, v29, 0xbf5db3d7, v14
	v_fmac_f32_e32 v14, 0x3f5db3d7, v29
	v_fma_f32 v4, -0.5, v31, v4
	v_sub_f32_e32 v31, v36, v38
	s_delay_alu instid0(VALU_DEP_4) | instskip(SKIP_2) | instid1(VALU_DEP_1)
	v_fmamk_f32 v29, v30, 0x3f5db3d7, v15
	v_fmac_f32_e32 v15, 0xbf5db3d7, v30
	v_add_f32_e32 v30, v36, v38
	v_dual_fmamk_f32 v36, v31, 0xbf5db3d7, v4 :: v_dual_fmac_f32 v5, -0.5, v30
	v_add_f32_e32 v30, v37, v45
	v_dual_fmac_f32 v4, 0x3f5db3d7, v31 :: v_dual_add_f32 v31, v39, v38
	s_delay_alu instid0(VALU_DEP_3)
	v_fmamk_f32 v37, v40, 0x3f5db3d7, v5
	v_fmac_f32_e32 v5, 0xbf5db3d7, v40
	ds_store_b64 v129, v[16:17] offset:2312
	ds_store_b64 v129, v[6:7] offset:4624
	ds_store_2addr_b64 v129, v[8:9], v[18:19] offset1:51
	ds_store_2addr_b64 v123, v[20:21], v[24:25] offset0:84 offset1:135
	ds_store_2addr_b64 v124, v[10:11], v[12:13] offset0:117 offset1:168
	;; [unrolled: 1-line block ×3, first 2 shown]
	ds_store_b64 v129, v[14:15] offset:5848
	ds_store_b64 v129, v[30:31] offset:1632
	ds_store_2addr_b64 v123, v[28:29], v[36:37] offset0:186 offset1:237
	ds_store_b64 v129, v[4:5] offset:6256
	s_and_saveexec_b32 s0, vcc_lo
	s_cbranch_execz .LBB0_9
; %bb.8:
	v_dual_mul_f32 v4, v1, v34 :: v_dual_mul_f32 v5, v3, v119
	v_dual_mul_f32 v1, v1, v35 :: v_dual_mul_f32 v6, v3, v120
	s_delay_alu instid0(VALU_DEP_2) | instskip(NEXT) | instid1(VALU_DEP_3)
	v_fma_f32 v3, v0, v35, -v4
	v_fma_f32 v4, v2, v120, -v5
	s_delay_alu instid0(VALU_DEP_3) | instskip(NEXT) | instid1(VALU_DEP_2)
	v_dual_fmac_f32 v1, v0, v34 :: v_dual_fmac_f32 v6, v2, v119
	v_dual_add_f32 v5, v33, v3 :: v_dual_add_f32 v0, v3, v4
	s_delay_alu instid0(VALU_DEP_2) | instskip(SKIP_1) | instid1(VALU_DEP_3)
	v_dual_add_f32 v8, v32, v1 :: v_dual_sub_f32 v7, v1, v6
	v_dual_add_f32 v2, v1, v6 :: v_dual_sub_f32 v9, v3, v4
	v_fma_f32 v1, -0.5, v0, v33
	s_delay_alu instid0(VALU_DEP_4) | instskip(NEXT) | instid1(VALU_DEP_3)
	v_add_f32_e32 v3, v5, v4
	v_fma_f32 v0, -0.5, v2, v32
	s_delay_alu instid0(VALU_DEP_3) | instskip(NEXT) | instid1(VALU_DEP_2)
	v_dual_add_f32 v2, v8, v6 :: v_dual_fmamk_f32 v5, v7, 0xbf5db3d7, v1
	v_dual_fmac_f32 v1, 0x3f5db3d7, v7 :: v_dual_fmamk_f32 v4, v9, 0x3f5db3d7, v0
	v_fmac_f32_e32 v0, 0xbf5db3d7, v9
	ds_store_b64 v129, v[2:3] offset:2040
	ds_store_b64 v129, v[0:1] offset:4352
	;; [unrolled: 1-line block ×3, first 2 shown]
.LBB0_9:
	s_wait_alu 0xfffe
	s_or_b32 exec_lo, exec_lo, s0
	global_wb scope:SCOPE_SE
	s_wait_dscnt 0x0
	s_barrier_signal -1
	s_barrier_wait -1
	global_inv scope:SCOPE_SE
	ds_load_2addr_b64 v[0:3], v129 offset1:51
	ds_load_2addr_b64 v[4:7], v129 offset0:102 offset1:153
	ds_load_2addr_b64 v[8:11], v129 offset0:204 offset1:255
	v_add_nc_u32_e32 v16, 0x800, v129
	v_add_nc_u32_e32 v17, 0xc00, v129
	;; [unrolled: 1-line block ×3, first 2 shown]
	v_mad_co_u64_u32 v[28:29], null, s6, v84, 0
	v_mad_co_u64_u32 v[30:31], null, s4, v130, 0
	s_mov_b32 s8, 0x8b5e3104
	s_mov_b32 s9, 0x3f52e5b8
	s_mul_u64 s[0:1], s[4:5], 0x198
	s_delay_alu instid0(VALU_DEP_1)
	v_mad_co_u64_u32 v[40:41], null, s7, v84, v[29:30]
	s_wait_dscnt 0x2
	v_dual_mul_f32 v21, v106, v2 :: v_dual_mul_f32 v18, v100, v1
	v_dual_mul_f32 v19, v100, v0 :: v_dual_mul_f32 v20, v106, v3
	s_wait_dscnt 0x1
	v_mul_f32_e32 v43, v88, v7
	s_delay_alu instid0(VALU_DEP_3)
	v_fma_f32 v21, v105, v3, -v21
	v_fmac_f32_e32 v18, v99, v0
	v_fma_f32 v19, v99, v1, -v19
	v_fmac_f32_e32 v20, v105, v2
	ds_load_2addr_b64 v[12:15], v16 offset0:50 offset1:101
	v_cvt_f64_f32_e32 v[38:39], v21
	v_cvt_f64_f32_e32 v[32:33], v18
	;; [unrolled: 1-line block ×4, first 2 shown]
	s_wait_dscnt 0x1
	v_dual_mul_f32 v44, v88, v6 :: v_dual_mul_f32 v45, v98, v9
	v_dual_mul_f32 v46, v98, v8 :: v_dual_mov_b32 v29, v40
	v_mul_f32_e32 v48, v104, v10
	v_fmac_f32_e32 v43, v87, v6
	s_delay_alu instid0(VALU_DEP_4)
	v_fmac_f32_e32 v45, v97, v8
	ds_load_2addr_b64 v[0:3], v16 offset0:152 offset1:203
	ds_load_2addr_b64 v[16:19], v17 offset0:126 offset1:177
	;; [unrolled: 1-line block ×4, first 2 shown]
	v_fma_f32 v48, v103, v11, -v48
	v_lshlrev_b64_e32 v[28:29], 3, v[28:29]
	v_mul_f32_e32 v47, v104, v11
	s_delay_alu instid0(VALU_DEP_3) | instskip(SKIP_1) | instid1(VALU_DEP_2)
	v_cvt_f64_f32_e32 v[48:49], v48
	s_wait_dscnt 0x4
	v_dual_mul_f32 v50, v102, v15 :: v_dual_fmac_f32 v47, v103, v10
	s_delay_alu instid0(VALU_DEP_1) | instskip(SKIP_4) | instid1(VALU_DEP_3)
	v_fmac_f32_e32 v50, v101, v14
	s_wait_dscnt 0x2
	v_dual_mul_f32 v56, v114, v17 :: v_dual_mul_f32 v59, v112, v18
	v_dual_mul_f32 v57, v114, v16 :: v_dual_mul_f32 v52, v108, v1
	;; [unrolled: 1-line block ×3, first 2 shown]
	v_dual_mul_f32 v55, v110, v2 :: v_dual_fmac_f32 v56, v113, v16
	s_wait_alu 0xfffe
	v_mul_f64_e32 v[38:39], s[8:9], v[38:39]
	v_mad_co_u64_u32 v[41:42], null, s5, v130, v[31:32]
	v_mul_f32_e32 v31, v86, v5
	v_mul_f32_e32 v42, v86, v4
	v_mul_f64_e32 v[32:33], s[8:9], v[32:33]
	v_mul_f64_e32 v[34:35], s[8:9], v[34:35]
	;; [unrolled: 1-line block ×3, first 2 shown]
	v_fmac_f32_e32 v31, v85, v4
	v_fma_f32 v40, v85, v5, -v42
	v_fma_f32 v42, v87, v7, -v44
	;; [unrolled: 1-line block ×3, first 2 shown]
	v_cvt_f64_f32_e32 v[46:47], v47
	v_cvt_f64_f32_e32 v[4:5], v31
	;; [unrolled: 1-line block ×4, first 2 shown]
	v_mul_f32_e32 v40, v94, v13
	v_cvt_f64_f32_e32 v[8:9], v43
	v_cvt_f64_f32_e32 v[42:43], v45
	;; [unrolled: 1-line block ×3, first 2 shown]
	v_mov_b32_e32 v31, v41
	v_fma_f32 v57, v113, v17, -v57
	v_fmac_f32_e32 v52, v107, v0
	v_fma_f32 v53, v107, v1, -v53
	v_fmac_f32_e32 v54, v109, v2
	v_fma_f32 v55, v109, v3, -v55
	v_dual_mul_f32 v41, v94, v12 :: v_dual_mul_f32 v58, v112, v19
	v_dual_mul_f32 v51, v102, v14 :: v_dual_fmac_f32 v40, v93, v12
	v_lshlrev_b64_e32 v[30:31], 3, v[30:31]
	s_delay_alu instid0(VALU_DEP_3) | instskip(SKIP_1) | instid1(VALU_DEP_4)
	v_fma_f32 v41, v93, v13, -v41
	v_fma_f32 v59, v111, v19, -v59
	;; [unrolled: 1-line block ×3, first 2 shown]
	v_mul_f64_e32 v[14:15], s[8:9], v[48:49]
	v_add_co_u32 v48, vcc_lo, s2, v28
	s_wait_alu 0xfffd
	v_add_co_ci_u32_e32 v49, vcc_lo, s3, v29, vcc_lo
	v_cvt_f64_f32_e32 v[28:29], v41
	s_delay_alu instid0(VALU_DEP_3) | instskip(SKIP_1) | instid1(VALU_DEP_3)
	v_add_co_u32 v30, vcc_lo, v48, v30
	s_wait_alu 0xfffd
	v_add_co_ci_u32_e32 v31, vcc_lo, v49, v31, vcc_lo
	v_cvt_f32_f64_e32 v16, v[32:33]
	v_cvt_f32_f64_e32 v17, v[34:35]
	;; [unrolled: 1-line block ×4, first 2 shown]
	v_cvt_f64_f32_e32 v[34:35], v50
	v_add_co_u32 v50, vcc_lo, v30, s0
	v_mul_f64_e32 v[0:1], s[8:9], v[4:5]
	v_mul_f64_e32 v[2:3], s[8:9], v[6:7]
	v_mul_f64_e32 v[6:7], s[8:9], v[10:11]
	v_mul_f64_e32 v[12:13], s[8:9], v[46:47]
	v_mul_f64_e32 v[4:5], s[8:9], v[8:9]
	v_mul_f64_e32 v[8:9], s[8:9], v[42:43]
	v_mul_f64_e32 v[10:11], s[8:9], v[44:45]
	v_cvt_f64_f32_e32 v[36:37], v51
	s_wait_alu 0xfffd
	v_add_co_ci_u32_e32 v51, vcc_lo, s1, v31, vcc_lo
	v_cvt_f64_f32_e32 v[38:39], v52
	v_cvt_f64_f32_e32 v[44:45], v55
	;; [unrolled: 1-line block ×3, first 2 shown]
	s_clause 0x1
	global_store_b64 v[30:31], v[16:17], off
	global_store_b64 v[50:51], v[32:33], off
	s_wait_dscnt 0x0
	v_mul_f32_e32 v30, v92, v25
	v_mul_f32_e32 v16, v96, v23
	;; [unrolled: 1-line block ×3, first 2 shown]
	v_cvt_f64_f32_e32 v[46:47], v56
	v_cvt_f32_f64_e32 v0, v[0:1]
	v_cvt_f32_f64_e32 v1, v[2:3]
	;; [unrolled: 1-line block ×6, first 2 shown]
	ds_load_b64 v[8:9], v129 offset:6528
	v_fmac_f32_e32 v58, v111, v18
	v_cvt_f64_f32_e32 v[18:19], v40
	v_cvt_f32_f64_e32 v7, v[14:15]
	v_mul_f32_e32 v12, v90, v21
	v_mul_f32_e32 v14, v96, v22
	v_fmac_f32_e32 v30, v91, v24
	v_mul_f32_e32 v13, v90, v20
	v_cvt_f64_f32_e32 v[40:41], v53
	v_cvt_f64_f32_e32 v[42:43], v54
	v_mul_f32_e32 v24, v92, v24
	v_fmac_f32_e32 v12, v89, v20
	v_fmac_f32_e32 v16, v95, v22
	v_fma_f32 v20, v95, v23, -v14
	v_cvt_f64_f32_e32 v[22:23], v30
	v_mul_f32_e32 v30, v116, v27
	v_fma_f32 v15, v89, v21, -v13
	v_cvt_f32_f64_e32 v5, v[10:11]
	v_cvt_f64_f32_e32 v[10:11], v59
	v_fma_f32 v24, v91, v25, -v24
	s_wait_dscnt 0x0
	v_mul_f32_e32 v33, v118, v8
	v_mul_f32_e32 v32, v118, v9
	v_cvt_f64_f32_e32 v[52:53], v58
	v_fmac_f32_e32 v30, v115, v26
	v_fma_f32 v26, v115, v27, -v31
	v_fma_f32 v33, v117, v9, -v33
	v_fmac_f32_e32 v32, v117, v8
	v_cvt_f64_f32_e32 v[12:13], v12
	v_cvt_f64_f32_e32 v[14:15], v15
	;; [unrolled: 1-line block ×9, first 2 shown]
	v_add_co_u32 v54, vcc_lo, v50, s0
	s_wait_alu 0xfffd
	v_add_co_ci_u32_e32 v55, vcc_lo, s1, v51, vcc_lo
	v_mul_f64_e32 v[18:19], s[8:9], v[18:19]
	v_mul_f64_e32 v[28:29], s[8:9], v[28:29]
	v_add_co_u32 v50, vcc_lo, v54, s0
	s_wait_alu 0xfffd
	v_add_co_ci_u32_e32 v51, vcc_lo, s1, v55, vcc_lo
	v_mul_f64_e32 v[34:35], s[8:9], v[34:35]
	s_delay_alu instid0(VALU_DEP_3) | instskip(SKIP_1) | instid1(VALU_DEP_3)
	v_add_co_u32 v56, vcc_lo, v50, s0
	s_wait_alu 0xfffd
	v_add_co_ci_u32_e32 v57, vcc_lo, s1, v51, vcc_lo
	v_mul_f64_e32 v[36:37], s[8:9], v[36:37]
	v_mul_f64_e32 v[38:39], s[8:9], v[38:39]
	v_mul_f64_e32 v[40:41], s[8:9], v[40:41]
	v_mul_f64_e32 v[42:43], s[8:9], v[42:43]
	v_mul_f64_e32 v[44:45], s[8:9], v[44:45]
	v_mul_f64_e32 v[46:47], s[8:9], v[46:47]
	v_mul_f64_e32 v[48:49], s[8:9], v[48:49]
	v_add_co_u32 v58, vcc_lo, v56, s0
	s_wait_alu 0xfffd
	v_add_co_ci_u32_e32 v59, vcc_lo, s1, v57, vcc_lo
	s_clause 0x2
	global_store_b64 v[54:55], v[0:1], off
	global_store_b64 v[50:51], v[2:3], off
	;; [unrolled: 1-line block ×4, first 2 shown]
	v_mul_f64_e32 v[0:1], s[8:9], v[52:53]
	v_mul_f64_e32 v[2:3], s[8:9], v[10:11]
	;; [unrolled: 1-line block ×12, first 2 shown]
	v_add_co_u32 v26, vcc_lo, v58, s0
	s_wait_alu 0xfffd
	v_add_co_ci_u32_e32 v27, vcc_lo, s1, v59, vcc_lo
	v_cvt_f32_f64_e32 v18, v[18:19]
	v_cvt_f32_f64_e32 v19, v[28:29]
	v_add_co_u32 v30, vcc_lo, v26, s0
	s_wait_alu 0xfffd
	v_add_co_ci_u32_e32 v31, vcc_lo, s1, v27, vcc_lo
	v_cvt_f32_f64_e32 v28, v[34:35]
	s_delay_alu instid0(VALU_DEP_3) | instskip(SKIP_1) | instid1(VALU_DEP_3)
	v_add_co_u32 v34, vcc_lo, v30, s0
	s_wait_alu 0xfffd
	v_add_co_ci_u32_e32 v35, vcc_lo, s1, v31, vcc_lo
	v_cvt_f32_f64_e32 v29, v[36:37]
	v_cvt_f32_f64_e32 v32, v[38:39]
	;; [unrolled: 1-line block ×7, first 2 shown]
	v_add_co_u32 v40, vcc_lo, v34, s0
	s_wait_alu 0xfffd
	v_add_co_ci_u32_e32 v41, vcc_lo, s1, v35, vcc_lo
	v_cvt_f32_f64_e32 v0, v[0:1]
	v_cvt_f32_f64_e32 v1, v[2:3]
	;; [unrolled: 1-line block ×12, first 2 shown]
	v_add_co_u32 v12, vcc_lo, v40, s0
	s_wait_alu 0xfffd
	v_add_co_ci_u32_e32 v13, vcc_lo, s1, v41, vcc_lo
	s_delay_alu instid0(VALU_DEP_2) | instskip(SKIP_1) | instid1(VALU_DEP_2)
	v_add_co_u32 v14, vcc_lo, v12, s0
	s_wait_alu 0xfffd
	v_add_co_ci_u32_e32 v15, vcc_lo, s1, v13, vcc_lo
	global_store_b64 v[26:27], v[18:19], off
	v_add_co_u32 v16, vcc_lo, v14, s0
	s_wait_alu 0xfffd
	v_add_co_ci_u32_e32 v17, vcc_lo, s1, v15, vcc_lo
	s_delay_alu instid0(VALU_DEP_2) | instskip(SKIP_1) | instid1(VALU_DEP_2)
	v_add_co_u32 v18, vcc_lo, v16, s0
	s_wait_alu 0xfffd
	v_add_co_ci_u32_e32 v19, vcc_lo, s1, v17, vcc_lo
	global_store_b64 v[30:31], v[28:29], off
	v_add_co_u32 v20, vcc_lo, v18, s0
	s_wait_alu 0xfffd
	v_add_co_ci_u32_e32 v21, vcc_lo, s1, v19, vcc_lo
	global_store_b64 v[34:35], v[32:33], off
	global_store_b64 v[40:41], v[36:37], off
	;; [unrolled: 1-line block ×3, first 2 shown]
	v_add_co_u32 v12, vcc_lo, v20, s0
	s_wait_alu 0xfffd
	v_add_co_ci_u32_e32 v13, vcc_lo, s1, v21, vcc_lo
	global_store_b64 v[14:15], v[0:1], off
	v_add_co_u32 v0, vcc_lo, v12, s0
	s_wait_alu 0xfffd
	v_add_co_ci_u32_e32 v1, vcc_lo, s1, v13, vcc_lo
	global_store_b64 v[16:17], v[2:3], off
	global_store_b64 v[18:19], v[4:5], off
	;; [unrolled: 1-line block ×5, first 2 shown]
.LBB0_10:
	s_nop 0
	s_sendmsg sendmsg(MSG_DEALLOC_VGPRS)
	s_endpgm
	.section	.rodata,"a",@progbits
	.p2align	6, 0x0
	.amdhsa_kernel bluestein_single_fwd_len867_dim1_sp_op_CI_CI
		.amdhsa_group_segment_fixed_size 6936
		.amdhsa_private_segment_fixed_size 0
		.amdhsa_kernarg_size 104
		.amdhsa_user_sgpr_count 2
		.amdhsa_user_sgpr_dispatch_ptr 0
		.amdhsa_user_sgpr_queue_ptr 0
		.amdhsa_user_sgpr_kernarg_segment_ptr 1
		.amdhsa_user_sgpr_dispatch_id 0
		.amdhsa_user_sgpr_private_segment_size 0
		.amdhsa_wavefront_size32 1
		.amdhsa_uses_dynamic_stack 0
		.amdhsa_enable_private_segment 0
		.amdhsa_system_sgpr_workgroup_id_x 1
		.amdhsa_system_sgpr_workgroup_id_y 0
		.amdhsa_system_sgpr_workgroup_id_z 0
		.amdhsa_system_sgpr_workgroup_info 0
		.amdhsa_system_vgpr_workitem_id 0
		.amdhsa_next_free_vgpr 251
		.amdhsa_next_free_sgpr 20
		.amdhsa_reserve_vcc 1
		.amdhsa_float_round_mode_32 0
		.amdhsa_float_round_mode_16_64 0
		.amdhsa_float_denorm_mode_32 3
		.amdhsa_float_denorm_mode_16_64 3
		.amdhsa_fp16_overflow 0
		.amdhsa_workgroup_processor_mode 1
		.amdhsa_memory_ordered 1
		.amdhsa_forward_progress 0
		.amdhsa_round_robin_scheduling 0
		.amdhsa_exception_fp_ieee_invalid_op 0
		.amdhsa_exception_fp_denorm_src 0
		.amdhsa_exception_fp_ieee_div_zero 0
		.amdhsa_exception_fp_ieee_overflow 0
		.amdhsa_exception_fp_ieee_underflow 0
		.amdhsa_exception_fp_ieee_inexact 0
		.amdhsa_exception_int_div_zero 0
	.end_amdhsa_kernel
	.text
.Lfunc_end0:
	.size	bluestein_single_fwd_len867_dim1_sp_op_CI_CI, .Lfunc_end0-bluestein_single_fwd_len867_dim1_sp_op_CI_CI
                                        ; -- End function
	.section	.AMDGPU.csdata,"",@progbits
; Kernel info:
; codeLenInByte = 28048
; NumSgprs: 22
; NumVgprs: 251
; ScratchSize: 0
; MemoryBound: 0
; FloatMode: 240
; IeeeMode: 1
; LDSByteSize: 6936 bytes/workgroup (compile time only)
; SGPRBlocks: 2
; VGPRBlocks: 31
; NumSGPRsForWavesPerEU: 22
; NumVGPRsForWavesPerEU: 251
; Occupancy: 5
; WaveLimiterHint : 1
; COMPUTE_PGM_RSRC2:SCRATCH_EN: 0
; COMPUTE_PGM_RSRC2:USER_SGPR: 2
; COMPUTE_PGM_RSRC2:TRAP_HANDLER: 0
; COMPUTE_PGM_RSRC2:TGID_X_EN: 1
; COMPUTE_PGM_RSRC2:TGID_Y_EN: 0
; COMPUTE_PGM_RSRC2:TGID_Z_EN: 0
; COMPUTE_PGM_RSRC2:TIDIG_COMP_CNT: 0
	.text
	.p2alignl 7, 3214868480
	.fill 96, 4, 3214868480
	.type	__hip_cuid_6b5ba3f5d7c8d072,@object ; @__hip_cuid_6b5ba3f5d7c8d072
	.section	.bss,"aw",@nobits
	.globl	__hip_cuid_6b5ba3f5d7c8d072
__hip_cuid_6b5ba3f5d7c8d072:
	.byte	0                               ; 0x0
	.size	__hip_cuid_6b5ba3f5d7c8d072, 1

	.ident	"AMD clang version 19.0.0git (https://github.com/RadeonOpenCompute/llvm-project roc-6.4.0 25133 c7fe45cf4b819c5991fe208aaa96edf142730f1d)"
	.section	".note.GNU-stack","",@progbits
	.addrsig
	.addrsig_sym __hip_cuid_6b5ba3f5d7c8d072
	.amdgpu_metadata
---
amdhsa.kernels:
  - .args:
      - .actual_access:  read_only
        .address_space:  global
        .offset:         0
        .size:           8
        .value_kind:     global_buffer
      - .actual_access:  read_only
        .address_space:  global
        .offset:         8
        .size:           8
        .value_kind:     global_buffer
      - .actual_access:  read_only
        .address_space:  global
        .offset:         16
        .size:           8
        .value_kind:     global_buffer
      - .actual_access:  read_only
        .address_space:  global
        .offset:         24
        .size:           8
        .value_kind:     global_buffer
      - .actual_access:  read_only
        .address_space:  global
        .offset:         32
        .size:           8
        .value_kind:     global_buffer
      - .offset:         40
        .size:           8
        .value_kind:     by_value
      - .address_space:  global
        .offset:         48
        .size:           8
        .value_kind:     global_buffer
      - .address_space:  global
        .offset:         56
        .size:           8
        .value_kind:     global_buffer
      - .address_space:  global
        .offset:         64
        .size:           8
        .value_kind:     global_buffer
      - .address_space:  global
        .offset:         72
        .size:           8
        .value_kind:     global_buffer
      - .offset:         80
        .size:           4
        .value_kind:     by_value
      - .address_space:  global
        .offset:         88
        .size:           8
        .value_kind:     global_buffer
      - .address_space:  global
        .offset:         96
        .size:           8
        .value_kind:     global_buffer
    .group_segment_fixed_size: 6936
    .kernarg_segment_align: 8
    .kernarg_segment_size: 104
    .language:       OpenCL C
    .language_version:
      - 2
      - 0
    .max_flat_workgroup_size: 51
    .name:           bluestein_single_fwd_len867_dim1_sp_op_CI_CI
    .private_segment_fixed_size: 0
    .sgpr_count:     22
    .sgpr_spill_count: 0
    .symbol:         bluestein_single_fwd_len867_dim1_sp_op_CI_CI.kd
    .uniform_work_group_size: 1
    .uses_dynamic_stack: false
    .vgpr_count:     251
    .vgpr_spill_count: 0
    .wavefront_size: 32
    .workgroup_processor_mode: 1
amdhsa.target:   amdgcn-amd-amdhsa--gfx1201
amdhsa.version:
  - 1
  - 2
...

	.end_amdgpu_metadata
